;; amdgpu-corpus repo=ROCm/rocFFT kind=compiled arch=gfx906 opt=O3
	.text
	.amdgcn_target "amdgcn-amd-amdhsa--gfx906"
	.amdhsa_code_object_version 6
	.protected	fft_rtc_fwd_len1176_factors_2_2_2_3_7_7_wgs_56_tpt_56_halfLds_sp_ip_CI_unitstride_sbrr_R2C_dirReg ; -- Begin function fft_rtc_fwd_len1176_factors_2_2_2_3_7_7_wgs_56_tpt_56_halfLds_sp_ip_CI_unitstride_sbrr_R2C_dirReg
	.globl	fft_rtc_fwd_len1176_factors_2_2_2_3_7_7_wgs_56_tpt_56_halfLds_sp_ip_CI_unitstride_sbrr_R2C_dirReg
	.p2align	8
	.type	fft_rtc_fwd_len1176_factors_2_2_2_3_7_7_wgs_56_tpt_56_halfLds_sp_ip_CI_unitstride_sbrr_R2C_dirReg,@function
fft_rtc_fwd_len1176_factors_2_2_2_3_7_7_wgs_56_tpt_56_halfLds_sp_ip_CI_unitstride_sbrr_R2C_dirReg: ; @fft_rtc_fwd_len1176_factors_2_2_2_3_7_7_wgs_56_tpt_56_halfLds_sp_ip_CI_unitstride_sbrr_R2C_dirReg
; %bb.0:
	s_load_dwordx2 s[12:13], s[4:5], 0x50
	s_load_dwordx4 s[8:11], s[4:5], 0x0
	s_load_dwordx2 s[2:3], s[4:5], 0x18
	v_mul_u32_u24_e32 v1, 0x493, v0
	v_add_u32_sdwa v5, s6, v1 dst_sel:DWORD dst_unused:UNUSED_PAD src0_sel:DWORD src1_sel:WORD_1
	v_mov_b32_e32 v3, 0
	s_waitcnt lgkmcnt(0)
	v_cmp_lt_u64_e64 s[0:1], s[10:11], 2
	v_mov_b32_e32 v1, 0
	v_mov_b32_e32 v6, v3
	s_and_b64 vcc, exec, s[0:1]
	v_mov_b32_e32 v2, 0
	s_cbranch_vccnz .LBB0_8
; %bb.1:
	s_load_dwordx2 s[0:1], s[4:5], 0x10
	s_add_u32 s6, s2, 8
	s_addc_u32 s7, s3, 0
	v_mov_b32_e32 v1, 0
	v_mov_b32_e32 v2, 0
	s_waitcnt lgkmcnt(0)
	s_add_u32 s14, s0, 8
	s_addc_u32 s15, s1, 0
	s_mov_b64 s[16:17], 1
.LBB0_2:                                ; =>This Inner Loop Header: Depth=1
	s_load_dwordx2 s[18:19], s[14:15], 0x0
                                        ; implicit-def: $vgpr7_vgpr8
	s_waitcnt lgkmcnt(0)
	v_or_b32_e32 v4, s19, v6
	v_cmp_ne_u64_e32 vcc, 0, v[3:4]
	s_and_saveexec_b64 s[0:1], vcc
	s_xor_b64 s[20:21], exec, s[0:1]
	s_cbranch_execz .LBB0_4
; %bb.3:                                ;   in Loop: Header=BB0_2 Depth=1
	v_cvt_f32_u32_e32 v4, s18
	v_cvt_f32_u32_e32 v7, s19
	s_sub_u32 s0, 0, s18
	s_subb_u32 s1, 0, s19
	v_mac_f32_e32 v4, 0x4f800000, v7
	v_rcp_f32_e32 v4, v4
	v_mul_f32_e32 v4, 0x5f7ffffc, v4
	v_mul_f32_e32 v7, 0x2f800000, v4
	v_trunc_f32_e32 v7, v7
	v_mac_f32_e32 v4, 0xcf800000, v7
	v_cvt_u32_f32_e32 v7, v7
	v_cvt_u32_f32_e32 v4, v4
	v_mul_lo_u32 v8, s0, v7
	v_mul_hi_u32 v9, s0, v4
	v_mul_lo_u32 v11, s1, v4
	v_mul_lo_u32 v10, s0, v4
	v_add_u32_e32 v8, v9, v8
	v_add_u32_e32 v8, v8, v11
	v_mul_hi_u32 v9, v4, v10
	v_mul_lo_u32 v11, v4, v8
	v_mul_hi_u32 v13, v4, v8
	v_mul_hi_u32 v12, v7, v10
	v_mul_lo_u32 v10, v7, v10
	v_mul_hi_u32 v14, v7, v8
	v_add_co_u32_e32 v9, vcc, v9, v11
	v_addc_co_u32_e32 v11, vcc, 0, v13, vcc
	v_mul_lo_u32 v8, v7, v8
	v_add_co_u32_e32 v9, vcc, v9, v10
	v_addc_co_u32_e32 v9, vcc, v11, v12, vcc
	v_addc_co_u32_e32 v10, vcc, 0, v14, vcc
	v_add_co_u32_e32 v8, vcc, v9, v8
	v_addc_co_u32_e32 v9, vcc, 0, v10, vcc
	v_add_co_u32_e32 v4, vcc, v4, v8
	v_addc_co_u32_e32 v7, vcc, v7, v9, vcc
	v_mul_lo_u32 v8, s0, v7
	v_mul_hi_u32 v9, s0, v4
	v_mul_lo_u32 v10, s1, v4
	v_mul_lo_u32 v11, s0, v4
	v_add_u32_e32 v8, v9, v8
	v_add_u32_e32 v8, v8, v10
	v_mul_lo_u32 v12, v4, v8
	v_mul_hi_u32 v13, v4, v11
	v_mul_hi_u32 v14, v4, v8
	;; [unrolled: 1-line block ×3, first 2 shown]
	v_mul_lo_u32 v11, v7, v11
	v_mul_hi_u32 v9, v7, v8
	v_add_co_u32_e32 v12, vcc, v13, v12
	v_addc_co_u32_e32 v13, vcc, 0, v14, vcc
	v_mul_lo_u32 v8, v7, v8
	v_add_co_u32_e32 v11, vcc, v12, v11
	v_addc_co_u32_e32 v10, vcc, v13, v10, vcc
	v_addc_co_u32_e32 v9, vcc, 0, v9, vcc
	v_add_co_u32_e32 v8, vcc, v10, v8
	v_addc_co_u32_e32 v9, vcc, 0, v9, vcc
	v_add_co_u32_e32 v4, vcc, v4, v8
	v_addc_co_u32_e32 v9, vcc, v7, v9, vcc
	v_mad_u64_u32 v[7:8], s[0:1], v5, v9, 0
	v_mul_hi_u32 v10, v5, v4
	v_add_co_u32_e32 v11, vcc, v10, v7
	v_addc_co_u32_e32 v12, vcc, 0, v8, vcc
	v_mad_u64_u32 v[7:8], s[0:1], v6, v4, 0
	v_mad_u64_u32 v[9:10], s[0:1], v6, v9, 0
	v_add_co_u32_e32 v4, vcc, v11, v7
	v_addc_co_u32_e32 v4, vcc, v12, v8, vcc
	v_addc_co_u32_e32 v7, vcc, 0, v10, vcc
	v_add_co_u32_e32 v4, vcc, v4, v9
	v_addc_co_u32_e32 v9, vcc, 0, v7, vcc
	v_mul_lo_u32 v10, s19, v4
	v_mul_lo_u32 v11, s18, v9
	v_mad_u64_u32 v[7:8], s[0:1], s18, v4, 0
	v_add3_u32 v8, v8, v11, v10
	v_sub_u32_e32 v10, v6, v8
	v_mov_b32_e32 v11, s19
	v_sub_co_u32_e32 v7, vcc, v5, v7
	v_subb_co_u32_e64 v10, s[0:1], v10, v11, vcc
	v_subrev_co_u32_e64 v11, s[0:1], s18, v7
	v_subbrev_co_u32_e64 v10, s[0:1], 0, v10, s[0:1]
	v_cmp_le_u32_e64 s[0:1], s19, v10
	v_cndmask_b32_e64 v12, 0, -1, s[0:1]
	v_cmp_le_u32_e64 s[0:1], s18, v11
	v_cndmask_b32_e64 v11, 0, -1, s[0:1]
	v_cmp_eq_u32_e64 s[0:1], s19, v10
	v_cndmask_b32_e64 v10, v12, v11, s[0:1]
	v_add_co_u32_e64 v11, s[0:1], 2, v4
	v_addc_co_u32_e64 v12, s[0:1], 0, v9, s[0:1]
	v_add_co_u32_e64 v13, s[0:1], 1, v4
	v_addc_co_u32_e64 v14, s[0:1], 0, v9, s[0:1]
	v_subb_co_u32_e32 v8, vcc, v6, v8, vcc
	v_cmp_ne_u32_e64 s[0:1], 0, v10
	v_cmp_le_u32_e32 vcc, s19, v8
	v_cndmask_b32_e64 v10, v14, v12, s[0:1]
	v_cndmask_b32_e64 v12, 0, -1, vcc
	v_cmp_le_u32_e32 vcc, s18, v7
	v_cndmask_b32_e64 v7, 0, -1, vcc
	v_cmp_eq_u32_e32 vcc, s19, v8
	v_cndmask_b32_e32 v7, v12, v7, vcc
	v_cmp_ne_u32_e32 vcc, 0, v7
	v_cndmask_b32_e64 v7, v13, v11, s[0:1]
	v_cndmask_b32_e32 v8, v9, v10, vcc
	v_cndmask_b32_e32 v7, v4, v7, vcc
.LBB0_4:                                ;   in Loop: Header=BB0_2 Depth=1
	s_andn2_saveexec_b64 s[0:1], s[20:21]
	s_cbranch_execz .LBB0_6
; %bb.5:                                ;   in Loop: Header=BB0_2 Depth=1
	v_cvt_f32_u32_e32 v4, s18
	s_sub_i32 s20, 0, s18
	v_rcp_iflag_f32_e32 v4, v4
	v_mul_f32_e32 v4, 0x4f7ffffe, v4
	v_cvt_u32_f32_e32 v4, v4
	v_mul_lo_u32 v7, s20, v4
	v_mul_hi_u32 v7, v4, v7
	v_add_u32_e32 v4, v4, v7
	v_mul_hi_u32 v4, v5, v4
	v_mul_lo_u32 v7, v4, s18
	v_add_u32_e32 v8, 1, v4
	v_sub_u32_e32 v7, v5, v7
	v_subrev_u32_e32 v9, s18, v7
	v_cmp_le_u32_e32 vcc, s18, v7
	v_cndmask_b32_e32 v7, v7, v9, vcc
	v_cndmask_b32_e32 v4, v4, v8, vcc
	v_add_u32_e32 v8, 1, v4
	v_cmp_le_u32_e32 vcc, s18, v7
	v_cndmask_b32_e32 v7, v4, v8, vcc
	v_mov_b32_e32 v8, v3
.LBB0_6:                                ;   in Loop: Header=BB0_2 Depth=1
	s_or_b64 exec, exec, s[0:1]
	v_mul_lo_u32 v4, v8, s18
	v_mul_lo_u32 v11, v7, s19
	v_mad_u64_u32 v[9:10], s[0:1], v7, s18, 0
	s_load_dwordx2 s[0:1], s[6:7], 0x0
	s_add_u32 s16, s16, 1
	v_add3_u32 v4, v10, v11, v4
	v_sub_co_u32_e32 v5, vcc, v5, v9
	v_subb_co_u32_e32 v4, vcc, v6, v4, vcc
	s_waitcnt lgkmcnt(0)
	v_mul_lo_u32 v4, s0, v4
	v_mul_lo_u32 v6, s1, v5
	v_mad_u64_u32 v[1:2], s[0:1], s0, v5, v[1:2]
	s_addc_u32 s17, s17, 0
	s_add_u32 s6, s6, 8
	v_add3_u32 v2, v6, v2, v4
	v_mov_b32_e32 v4, s10
	v_mov_b32_e32 v5, s11
	s_addc_u32 s7, s7, 0
	v_cmp_ge_u64_e32 vcc, s[16:17], v[4:5]
	s_add_u32 s14, s14, 8
	s_addc_u32 s15, s15, 0
	s_cbranch_vccnz .LBB0_9
; %bb.7:                                ;   in Loop: Header=BB0_2 Depth=1
	v_mov_b32_e32 v5, v7
	v_mov_b32_e32 v6, v8
	s_branch .LBB0_2
.LBB0_8:
	v_mov_b32_e32 v8, v6
	v_mov_b32_e32 v7, v5
.LBB0_9:
	s_lshl_b64 s[0:1], s[10:11], 3
	s_add_u32 s0, s2, s0
	s_addc_u32 s1, s3, s1
	s_load_dwordx2 s[2:3], s[0:1], 0x0
	s_load_dwordx2 s[6:7], s[4:5], 0x20
                                        ; implicit-def: $vgpr36
                                        ; implicit-def: $vgpr35
                                        ; implicit-def: $vgpr30
                                        ; implicit-def: $vgpr32
                                        ; implicit-def: $vgpr34
                                        ; implicit-def: $vgpr29
                                        ; implicit-def: $vgpr28
                                        ; implicit-def: $vgpr27
                                        ; implicit-def: $vgpr26
	s_waitcnt lgkmcnt(0)
	v_mad_u64_u32 v[1:2], s[0:1], s2, v7, v[1:2]
	s_mov_b32 s0, 0x4924925
	v_mul_lo_u32 v3, s2, v8
	v_mul_lo_u32 v4, s3, v7
	v_mul_hi_u32 v5, v0, s0
	v_cmp_gt_u64_e64 s[0:1], s[6:7], v[7:8]
	v_cmp_le_u64_e32 vcc, s[6:7], v[7:8]
	v_add3_u32 v2, v4, v2, v3
	v_mul_u32_u24_e32 v3, 56, v5
	v_sub_u32_e32 v20, v0, v3
	v_add_u32_e32 v24, 56, v20
	s_and_saveexec_b64 s[2:3], vcc
	s_xor_b64 s[2:3], exec, s[2:3]
; %bb.10:
	v_add_u32_e32 v24, 56, v20
	v_add_u32_e32 v36, 0x70, v20
	v_add_u32_e32 v35, 0xa8, v20
	v_add_u32_e32 v30, 0xe0, v20
	v_add_u32_e32 v32, 0x118, v20
	v_add_u32_e32 v34, 0x150, v20
	v_add_u32_e32 v29, 0x188, v20
	v_or_b32_e32 v28, 0x1c0, v20
	v_add_u32_e32 v27, 0x1f8, v20
	v_add_u32_e32 v26, 0x230, v20
; %bb.11:
	s_or_saveexec_b64 s[2:3], s[2:3]
	v_lshlrev_b64 v[22:23], 3, v[1:2]
	s_xor_b64 exec, exec, s[2:3]
	s_cbranch_execz .LBB0_13
; %bb.12:
	v_mov_b32_e32 v21, 0
	v_mov_b32_e32 v0, s13
	v_add_co_u32_e32 v25, vcc, s12, v22
	v_addc_co_u32_e32 v26, vcc, v0, v23, vcc
	v_lshlrev_b64 v[0:1], 3, v[20:21]
	v_or_b32_e32 v18, 0x380, v20
	v_mov_b32_e32 v19, v21
	v_add_co_u32_e32 v0, vcc, v25, v0
	v_lshlrev_b64 v[18:19], 3, v[18:19]
	v_addc_co_u32_e32 v1, vcc, v26, v1, vcc
	v_add_co_u32_e32 v18, vcc, v25, v18
	s_movk_i32 s4, 0x1000
	v_addc_co_u32_e32 v19, vcc, v26, v19, vcc
	v_add_co_u32_e32 v25, vcc, s4, v0
	v_addc_co_u32_e32 v26, vcc, 0, v1, vcc
	global_load_dwordx2 v[2:3], v[0:1], off
	global_load_dwordx2 v[4:5], v[0:1], off offset:448
	global_load_dwordx2 v[6:7], v[0:1], off offset:896
	;; [unrolled: 1-line block ×15, first 2 shown]
	v_add_co_u32_e32 v0, vcc, 0x2000, v0
	v_addc_co_u32_e32 v1, vcc, 0, v1, vcc
	global_load_dwordx2 v[53:54], v[25:26], off offset:3520
	global_load_dwordx2 v[55:56], v[0:1], off offset:320
	global_load_dwordx2 v[57:58], v[18:19], off
	global_load_dwordx2 v[59:60], v[25:26], off offset:3968
	global_load_dwordx2 v[61:62], v[0:1], off offset:768
	v_lshl_add_u32 v0, v20, 3, 0
	v_add_u32_e32 v36, 0x70, v20
	v_add_u32_e32 v35, 0xa8, v20
	;; [unrolled: 1-line block ×6, first 2 shown]
	v_or_b32_e32 v28, 0x1c0, v20
	v_add_u32_e32 v27, 0x1f8, v20
	v_add_u32_e32 v26, 0x230, v20
	;; [unrolled: 1-line block ×7, first 2 shown]
	s_waitcnt vmcnt(19)
	ds_write2_b64 v0, v[2:3], v[4:5] offset1:56
	s_waitcnt vmcnt(17)
	ds_write2_b64 v0, v[6:7], v[8:9] offset0:112 offset1:168
	s_waitcnt vmcnt(15)
	ds_write2_b64 v1, v[10:11], v[12:13] offset0:96 offset1:152
	;; [unrolled: 2-line block ×9, first 2 shown]
	s_waitcnt vmcnt(0)
	ds_write_b64 v0, v[61:62] offset:8960
.LBB0_13:
	s_or_b64 exec, exec, s[2:3]
	v_lshlrev_b32_e32 v21, 3, v20
	v_add_u32_e32 v63, 0, v21
	s_waitcnt lgkmcnt(0)
	; wave barrier
	s_waitcnt lgkmcnt(0)
	v_add_u32_e32 v0, 0x1000, v63
	ds_read2_b64 v[1:4], v63 offset1:56
	ds_read2_b64 v[5:8], v0 offset0:48 offset1:76
	v_add_u32_e32 v11, 0x400, v63
	v_add_u32_e32 v15, 0x1c00, v63
	;; [unrolled: 1-line block ×3, first 2 shown]
	v_lshl_add_u32 v69, v29, 4, 0
	s_waitcnt lgkmcnt(0)
	v_sub_f32_e32 v61, v1, v7
	v_sub_f32_e32 v62, v2, v8
	v_add_u32_e32 v7, 0x1400, v63
	v_fma_f32 v64, v1, 2.0, -v61
	v_fma_f32 v65, v2, 2.0, -v62
	v_add_u32_e32 v1, 0x1800, v63
	v_add_u32_e32 v2, 0x2000, v63
	ds_read2_b64 v[7:10], v7 offset0:116 offset1:172
	ds_read2_b64 v[11:14], v11 offset0:96 offset1:152
	;; [unrolled: 1-line block ×9, first 2 shown]
	v_add_u32_e32 v19, v63, v21
	s_waitcnt lgkmcnt(3)
	v_sub_f32_e32 v45, v3, v45
	v_sub_f32_e32 v46, v4, v46
	s_waitcnt lgkmcnt(0)
	; wave barrier
	s_waitcnt lgkmcnt(0)
	ds_write2_b64 v19, v[64:65], v[61:62] offset1:1
	v_fma_f32 v3, v3, 2.0, -v45
	v_fma_f32 v4, v4, 2.0, -v46
	v_lshl_add_u32 v19, v24, 4, 0
	ds_write2_b64 v19, v[3:4], v[45:46] offset1:1
	v_sub_f32_e32 v3, v49, v47
	v_sub_f32_e32 v4, v50, v48
	v_fma_f32 v45, v49, 2.0, -v3
	v_fma_f32 v46, v50, 2.0, -v4
	v_lshl_add_u32 v19, v36, 4, 0
	ds_write2_b64 v19, v[45:46], v[3:4] offset1:1
	v_sub_f32_e32 v3, v51, v7
	v_sub_f32_e32 v4, v52, v8
	;; [unrolled: 6-line block ×4, first 2 shown]
	v_fma_f32 v7, v13, 2.0, -v3
	v_fma_f32 v8, v14, 2.0, -v4
	v_sub_f32_e32 v13, v39, v15
	v_sub_f32_e32 v14, v40, v16
	;; [unrolled: 1-line block ×4, first 2 shown]
	v_fma_f32 v15, v39, 2.0, -v13
	v_fma_f32 v16, v40, 2.0, -v14
	v_sub_f32_e32 v17, v41, v17
	v_sub_f32_e32 v18, v42, v18
	;; [unrolled: 1-line block ×6, first 2 shown]
	v_fma_f32 v11, v37, 2.0, -v9
	v_fma_f32 v12, v38, 2.0, -v10
	;; [unrolled: 1-line block ×8, first 2 shown]
	v_lshl_add_u32 v61, v32, 4, 0
	v_lshl_add_u32 v62, v34, 4, 0
	;; [unrolled: 1-line block ×4, first 2 shown]
	v_cmp_gt_u32_e32 vcc, 28, v20
	ds_write2_b64 v61, v[7:8], v[3:4] offset1:1
	ds_write2_b64 v62, v[11:12], v[9:10] offset1:1
	;; [unrolled: 1-line block ×5, first 2 shown]
	s_and_saveexec_b64 s[2:3], vcc
	s_cbranch_execz .LBB0_15
; %bb.14:
	v_lshl_add_u32 v3, v26, 4, 0
	ds_write2_b64 v3, v[37:38], v[39:40] offset1:1
.LBB0_15:
	s_or_b64 exec, exec, s[2:3]
	v_lshlrev_b32_e32 v71, 3, v32
	v_lshlrev_b32_e32 v72, 3, v34
	v_lshl_add_u32 v65, v30, 3, 0
	v_sub_u32_e32 v3, v61, v71
	v_sub_u32_e32 v4, v62, v72
	v_lshlrev_b32_e32 v80, 3, v29
	v_lshlrev_b32_e32 v82, 3, v28
	;; [unrolled: 1-line block ×3, first 2 shown]
	s_waitcnt lgkmcnt(0)
	; wave barrier
	s_waitcnt lgkmcnt(0)
	v_sub_u32_e32 v5, v69, v80
	ds_read_b64 v[47:48], v65
	ds_read_b64 v[45:46], v3
	;; [unrolled: 1-line block ×4, first 2 shown]
	v_sub_u32_e32 v3, v70, v82
	v_sub_u32_e32 v4, v81, v83
	v_lshl_add_u32 v68, v24, 3, 0
	v_lshl_add_u32 v67, v36, 3, 0
	;; [unrolled: 1-line block ×3, first 2 shown]
	ds_read_b64 v[51:52], v3
	ds_read_b64 v[49:50], v4
	;; [unrolled: 1-line block ×6, first 2 shown]
	ds_read2_b64 v[16:19], v0 offset0:76 offset1:132
	ds_read2_b64 v[12:15], v0 offset0:188 offset1:244
	;; [unrolled: 1-line block ×5, first 2 shown]
	v_lshlrev_b32_e32 v76, 1, v24
	v_lshlrev_b32_e32 v75, 1, v36
	;; [unrolled: 1-line block ×9, first 2 shown]
	v_lshl_add_u32 v64, v26, 3, 0
	s_and_saveexec_b64 s[2:3], vcc
	s_cbranch_execz .LBB0_17
; %bb.16:
	ds_read_b64 v[37:38], v64
	ds_read_b64 v[39:40], v63 offset:9184
.LBB0_17:
	s_or_b64 exec, exec, s[2:3]
	v_and_b32_e32 v85, 1, v20
	v_lshlrev_b32_e32 v73, 3, v85
	global_load_dwordx2 v[86:87], v73, s[8:9]
	v_sub_u32_e32 v84, 0, v82
	v_sub_u32_e32 v73, 0, v71
	;; [unrolled: 1-line block ×3, first 2 shown]
	v_lshlrev_b32_e32 v80, 1, v20
	s_movk_i32 s2, 0x7c
	s_waitcnt lgkmcnt(0)
	; wave barrier
	s_waitcnt lgkmcnt(0)
	s_movk_i32 s3, 0x2fc
	v_sub_u32_e32 v72, 0, v72
	v_sub_u32_e32 v83, 0, v83
	s_waitcnt vmcnt(0)
	v_mul_f32_e32 v82, v87, v17
	v_mul_f32_e32 v88, v87, v16
	;; [unrolled: 1-line block ×5, first 2 shown]
	v_fma_f32 v16, v86, v16, -v82
	v_mul_f32_e32 v90, v87, v18
	v_mul_f32_e32 v104, v87, v0
	v_fmac_f32_e32 v88, v86, v17
	v_fma_f32 v17, v86, v18, -v89
	v_fma_f32 v18, v86, v0, -v103
	;; [unrolled: 1-line block ×3, first 2 shown]
	v_sub_f32_e32 v0, v59, v16
	v_fmac_f32_e32 v104, v86, v1
	v_sub_f32_e32 v1, v60, v88
	v_sub_f32_e32 v16, v51, v18
	v_fma_f32 v18, v59, 2.0, -v0
	v_sub_f32_e32 v59, v49, v82
	v_and_or_b32 v82, v80, s2, v85
	v_mul_f32_e32 v106, v87, v2
	v_fmac_f32_e32 v90, v86, v19
	v_fma_f32 v19, v60, 2.0, -v1
	v_lshl_add_u32 v82, v82, 3, 0
	s_movk_i32 s2, 0xfc
	v_mul_f32_e32 v91, v87, v13
	v_mul_f32_e32 v92, v87, v12
	v_fmac_f32_e32 v106, v86, v3
	v_sub_f32_e32 v2, v57, v17
	v_sub_f32_e32 v3, v58, v90
	ds_write2_b64 v82, v[18:19], v[0:1] offset1:2
	v_and_or_b32 v0, v76, s2, v85
	v_mul_f32_e32 v93, v87, v15
	v_mul_f32_e32 v99, v87, v5
	;; [unrolled: 1-line block ×3, first 2 shown]
	v_fma_f32 v12, v86, v12, -v91
	v_fmac_f32_e32 v92, v86, v13
	v_fma_f32 v57, v57, 2.0, -v2
	v_fma_f32 v58, v58, 2.0, -v3
	v_lshl_add_u32 v0, v0, 3, 0
	s_movk_i32 s2, 0x1fc
	v_mul_f32_e32 v94, v87, v14
	v_fma_f32 v13, v86, v14, -v93
	v_fma_f32 v14, v86, v4, -v99
	v_fmac_f32_e32 v100, v86, v5
	v_sub_f32_e32 v4, v55, v12
	v_sub_f32_e32 v5, v56, v92
	ds_write2_b64 v0, v[57:58], v[2:3] offset1:2
	v_and_or_b32 v0, v75, s2, v85
	v_mul_f32_e32 v101, v87, v7
	v_mul_f32_e32 v102, v87, v6
	v_fmac_f32_e32 v94, v86, v15
	v_fma_f32 v55, v55, 2.0, -v4
	v_fma_f32 v56, v56, 2.0, -v5
	v_lshl_add_u32 v0, v0, 3, 0
	v_mul_f32_e32 v95, v87, v9
	v_mul_f32_e32 v96, v87, v8
	v_fma_f32 v15, v86, v6, -v101
	v_fmac_f32_e32 v102, v86, v7
	v_sub_f32_e32 v6, v53, v13
	v_sub_f32_e32 v7, v54, v94
	ds_write2_b64 v0, v[55:56], v[4:5] offset1:2
	v_and_or_b32 v0, v74, s2, v85
	v_fma_f32 v8, v86, v8, -v95
	v_fmac_f32_e32 v96, v86, v9
	v_fma_f32 v53, v53, 2.0, -v6
	v_fma_f32 v54, v54, 2.0, -v7
	v_lshl_add_u32 v0, v0, 3, 0
	s_movk_i32 s2, 0x3fc
	v_mul_f32_e32 v97, v87, v11
	v_mul_f32_e32 v98, v87, v10
	v_sub_f32_e32 v8, v47, v8
	v_sub_f32_e32 v9, v48, v96
	ds_write2_b64 v0, v[53:54], v[6:7] offset1:2
	v_and_or_b32 v0, v33, s2, v85
	v_fma_f32 v10, v86, v10, -v97
	v_fmac_f32_e32 v98, v86, v11
	v_fma_f32 v47, v47, 2.0, -v8
	v_fma_f32 v48, v48, 2.0, -v9
	v_lshl_add_u32 v0, v0, 3, 0
	v_sub_f32_e32 v10, v45, v10
	v_sub_f32_e32 v11, v46, v98
	ds_write2_b64 v0, v[47:48], v[8:9] offset1:2
	v_and_or_b32 v0, v31, s3, v85
	v_fma_f32 v45, v45, 2.0, -v10
	v_fma_f32 v46, v46, 2.0, -v11
	v_lshl_add_u32 v0, v0, 3, 0
	v_sub_f32_e32 v12, v43, v14
	v_sub_f32_e32 v13, v44, v100
	ds_write2_b64 v0, v[45:46], v[10:11] offset1:2
	v_and_or_b32 v0, v25, s2, v85
	v_fma_f32 v43, v43, 2.0, -v12
	v_fma_f32 v44, v44, 2.0, -v13
	v_lshl_add_u32 v0, v0, 3, 0
	v_sub_f32_e32 v14, v41, v15
	v_sub_f32_e32 v15, v42, v102
	ds_write2_b64 v0, v[43:44], v[12:13] offset1:2
	v_and_or_b32 v0, v79, s2, v85
	v_fma_f32 v41, v41, 2.0, -v14
	v_fma_f32 v42, v42, 2.0, -v15
	v_lshl_add_u32 v0, v0, 3, 0
	v_mul_f32_e32 v107, v40, v87
	v_mul_f32_e32 v87, v39, v87
	v_sub_f32_e32 v17, v52, v104
	ds_write2_b64 v0, v[41:42], v[14:15] offset1:2
	v_and_or_b32 v0, v78, s2, v85
	v_fma_f32 v39, v39, v86, -v107
	v_fmac_f32_e32 v87, v40, v86
	v_fma_f32 v51, v51, 2.0, -v16
	v_fma_f32 v52, v52, 2.0, -v17
	v_lshl_add_u32 v0, v0, 3, 0
	s_movk_i32 s2, 0x7fc
	v_sub_f32_e32 v60, v50, v106
	v_sub_f32_e32 v39, v37, v39
	;; [unrolled: 1-line block ×3, first 2 shown]
	ds_write2_b64 v0, v[51:52], v[16:17] offset1:2
	v_and_or_b32 v0, v77, s2, v85
	v_fma_f32 v49, v49, 2.0, -v59
	v_fma_f32 v50, v50, 2.0, -v60
	;; [unrolled: 1-line block ×4, first 2 shown]
	v_lshl_add_u32 v0, v0, 3, 0
	v_lshlrev_b32_e32 v82, 1, v26
	ds_write2_b64 v0, v[49:50], v[59:60] offset1:2
	s_and_saveexec_b64 s[2:3], vcc
	s_cbranch_execz .LBB0_19
; %bb.18:
	s_movk_i32 s4, 0x4fc
	v_and_or_b32 v0, v82, s4, v85
	v_lshl_add_u32 v0, v0, 3, 0
	ds_write2_b64 v0, v[37:38], v[39:40] offset1:2
.LBB0_19:
	s_or_b64 exec, exec, s[2:3]
	v_add_u32_e32 v4, 0x1000, v63
	s_waitcnt lgkmcnt(0)
	; wave barrier
	s_waitcnt lgkmcnt(0)
	ds_read2_b64 v[0:3], v4 offset0:76 offset1:132
	ds_read2_b64 v[4:7], v4 offset0:188 offset1:244
	ds_read_b64 v[49:50], v63
	ds_read_b64 v[45:46], v68
	;; [unrolled: 1-line block ×4, first 2 shown]
	v_add_u32_e32 v12, 0x1800, v63
	ds_read2_b64 v[8:11], v12 offset0:44 offset1:100
	v_add_u32_e32 v73, v61, v73
	v_add_u32_e32 v72, v62, v72
	ds_read2_b64 v[12:15], v12 offset0:156 offset1:212
	v_add_u32_e32 v71, v69, v71
	ds_read_b64 v[57:58], v65
	ds_read_b64 v[55:56], v73
	;; [unrolled: 1-line block ×4, first 2 shown]
	v_add_u32_e32 v70, v70, v84
	v_add_u32_e32 v16, 0x2000, v63
	ds_read2_b64 v[16:19], v16 offset0:12 offset1:68
	v_add_u32_e32 v69, v81, v83
	ds_read_b64 v[61:62], v70
	ds_read_b64 v[59:60], v69
	s_and_saveexec_b64 s[2:3], vcc
	s_cbranch_execz .LBB0_21
; %bb.20:
	ds_read_b64 v[37:38], v64
	ds_read_b64 v[39:40], v63 offset:9184
.LBB0_21:
	s_or_b64 exec, exec, s[2:3]
	v_and_b32_e32 v81, 3, v20
	v_lshlrev_b32_e32 v41, 3, v81
	global_load_dwordx2 v[41:42], v41, s[8:9] offset:16
	s_movk_i32 s2, 0x78
	v_and_or_b32 v80, v80, s2, v81
	v_lshl_add_u32 v80, v80, 3, 0
	s_movk_i32 s2, 0xf8
	s_waitcnt lgkmcnt(0)
	; wave barrier
	s_waitcnt lgkmcnt(0)
	s_movk_i32 s3, 0x2f8
	s_waitcnt vmcnt(0)
	v_mul_f32_e32 v83, v42, v1
	v_mul_f32_e32 v84, v42, v0
	v_fma_f32 v0, v41, v0, -v83
	v_fmac_f32_e32 v84, v41, v1
	v_mul_f32_e32 v85, v42, v3
	v_mul_f32_e32 v86, v42, v2
	v_sub_f32_e32 v0, v49, v0
	v_sub_f32_e32 v1, v50, v84
	v_fma_f32 v2, v41, v2, -v85
	v_fmac_f32_e32 v86, v41, v3
	v_fma_f32 v49, v49, 2.0, -v0
	v_fma_f32 v50, v50, 2.0, -v1
	v_mul_f32_e32 v87, v42, v5
	v_mul_f32_e32 v88, v42, v4
	v_sub_f32_e32 v2, v45, v2
	v_sub_f32_e32 v3, v46, v86
	ds_write2_b64 v80, v[49:50], v[0:1] offset1:4
	v_and_or_b32 v0, v76, s2, v81
	v_fma_f32 v4, v41, v4, -v87
	v_fmac_f32_e32 v88, v41, v5
	v_fma_f32 v45, v45, 2.0, -v2
	v_fma_f32 v46, v46, 2.0, -v3
	v_lshl_add_u32 v0, v0, 3, 0
	s_movk_i32 s2, 0x1f8
	v_mul_f32_e32 v89, v42, v7
	v_mul_f32_e32 v90, v42, v6
	v_sub_f32_e32 v4, v43, v4
	v_sub_f32_e32 v5, v44, v88
	ds_write2_b64 v0, v[45:46], v[2:3] offset1:4
	v_and_or_b32 v0, v75, s2, v81
	v_fma_f32 v6, v41, v6, -v89
	v_fmac_f32_e32 v90, v41, v7
	v_fma_f32 v43, v43, 2.0, -v4
	v_fma_f32 v44, v44, 2.0, -v5
	v_lshl_add_u32 v0, v0, 3, 0
	v_mul_f32_e32 v91, v42, v9
	v_mul_f32_e32 v92, v42, v8
	v_sub_f32_e32 v6, v47, v6
	v_sub_f32_e32 v7, v48, v90
	ds_write2_b64 v0, v[43:44], v[4:5] offset1:4
	v_and_or_b32 v0, v74, s2, v81
	v_fma_f32 v8, v41, v8, -v91
	v_fmac_f32_e32 v92, v41, v9
	v_fma_f32 v47, v47, 2.0, -v6
	v_fma_f32 v48, v48, 2.0, -v7
	v_lshl_add_u32 v0, v0, 3, 0
	s_movk_i32 s2, 0x3f8
	v_mul_f32_e32 v93, v42, v11
	v_mul_f32_e32 v94, v42, v10
	v_sub_f32_e32 v8, v57, v8
	v_sub_f32_e32 v9, v58, v92
	ds_write2_b64 v0, v[47:48], v[6:7] offset1:4
	v_and_or_b32 v0, v33, s2, v81
	v_fma_f32 v10, v41, v10, -v93
	v_fmac_f32_e32 v94, v41, v11
	v_fma_f32 v57, v57, 2.0, -v8
	v_fma_f32 v58, v58, 2.0, -v9
	v_lshl_add_u32 v0, v0, 3, 0
	v_mul_f32_e32 v95, v42, v13
	v_mul_f32_e32 v96, v42, v12
	v_sub_f32_e32 v10, v55, v10
	v_sub_f32_e32 v11, v56, v94
	ds_write2_b64 v0, v[57:58], v[8:9] offset1:4
	v_and_or_b32 v0, v31, s3, v81
	v_fma_f32 v12, v41, v12, -v95
	v_fmac_f32_e32 v96, v41, v13
	v_fma_f32 v55, v55, 2.0, -v10
	v_fma_f32 v56, v56, 2.0, -v11
	v_lshl_add_u32 v0, v0, 3, 0
	;; [unrolled: 11-line block ×5, first 2 shown]
	s_movk_i32 s2, 0x7f8
	v_sub_f32_e32 v18, v59, v18
	v_sub_f32_e32 v19, v60, v102
	ds_write2_b64 v0, v[61:62], v[16:17] offset1:4
	v_and_or_b32 v0, v77, s2, v81
	v_fma_f32 v59, v59, 2.0, -v18
	v_fma_f32 v60, v60, 2.0, -v19
	v_lshl_add_u32 v0, v0, 3, 0
	ds_write2_b64 v0, v[59:60], v[18:19] offset1:4
	s_and_saveexec_b64 s[2:3], vcc
	s_cbranch_execz .LBB0_23
; %bb.22:
	v_mul_f32_e32 v0, v39, v42
	v_fmac_f32_e32 v0, v40, v41
	v_sub_f32_e32 v1, v38, v0
	v_mul_f32_e32 v0, v40, v42
	v_fma_f32 v0, v39, v41, -v0
	s_movk_i32 s4, 0x4f8
	v_sub_f32_e32 v0, v37, v0
	v_and_or_b32 v4, v82, s4, v81
	v_fma_f32 v3, v38, 2.0, -v1
	v_fma_f32 v2, v37, 2.0, -v0
	v_lshl_add_u32 v4, v4, 3, 0
	ds_write2_b64 v4, v[2:3], v[0:1] offset1:4
.LBB0_23:
	s_or_b64 exec, exec, s[2:3]
	v_and_b32_e32 v19, 7, v20
	v_lshlrev_b32_e32 v0, 4, v19
	s_waitcnt lgkmcnt(0)
	; wave barrier
	s_waitcnt lgkmcnt(0)
	global_load_dwordx4 v[7:10], v0, s[8:9] offset:48
	ds_read2st64_b64 v[11:14], v63 offset1:7
	v_add_u32_e32 v2, 0x1400, v63
	v_add_u32_e32 v4, 0x1800, v63
	;; [unrolled: 1-line block ×3, first 2 shown]
	ds_read_b64 v[0:1], v68
	ds_read_b64 v[57:58], v67
	;; [unrolled: 1-line block ×4, first 2 shown]
	v_add_u32_e32 v6, 0x1000, v63
	ds_read_b64 v[74:75], v73
	v_add_u32_e32 v5, 0x2000, v63
	ds_read_b64 v[76:77], v71
	ds_read_b64 v[78:79], v72
	ds_read2_b64 v[15:18], v2 offset0:88 offset1:144
	ds_read2_b64 v[37:40], v4 offset0:72 offset1:128
	;; [unrolled: 1-line block ×6, first 2 shown]
	s_waitcnt lgkmcnt(0)
	; wave barrier
	s_waitcnt lgkmcnt(0)
	s_movk_i32 s2, 0xab
	s_mov_b32 s4, 0x3f5ff5aa
	s_mov_b32 s6, 0x3f3bfb3b
	s_mov_b32 s5, 0xbf3bfb3b
	s_mov_b32 s7, 0xbeae86e6
	s_waitcnt vmcnt(0)
	v_mul_f32_e32 v25, v8, v77
	v_mul_f32_e32 v33, v10, v18
	;; [unrolled: 1-line block ×17, first 2 shown]
	v_fma_f32 v25, v7, v76, -v25
	v_fma_f32 v17, v9, v17, -v33
	v_mul_f32_e32 v83, v10, v38
	v_mul_f32_e32 v84, v10, v37
	;; [unrolled: 1-line block ×11, first 2 shown]
	v_fma_f32 v55, v55, v9, -v8
	v_add_f32_e32 v8, v25, v17
	v_fmac_f32_e32 v31, v7, v77
	v_fmac_f32_e32 v80, v9, v18
	v_fma_f32 v33, v9, v37, -v83
	v_fmac_f32_e32 v84, v9, v38
	v_fmac_f32_e32 v86, v42, v7
	v_fma_f32 v39, v39, v9, -v87
	v_fmac_f32_e32 v88, v40, v9
	v_fma_f32 v42, v43, v7, -v89
	v_fma_f32 v43, v45, v9, -v91
	v_fmac_f32_e32 v92, v46, v9
	v_fmac_f32_e32 v94, v50, v7
	v_fma_f32 v47, v47, v9, -v95
	v_fmac_f32_e32 v96, v48, v9
	v_fma_f32 v50, v51, v7, -v97
	v_fma_f32 v51, v53, v9, -v99
	v_fmac_f32_e32 v100, v54, v9
	v_fmac_f32_e32 v103, v56, v9
	v_fma_f32 v9, -0.5, v8, v11
	v_fma_f32 v18, v7, v13, -v81
	v_fmac_f32_e32 v82, v7, v14
	v_fma_f32 v38, v41, v7, -v85
	v_fmac_f32_e32 v90, v44, v7
	;; [unrolled: 2-line block ×4, first 2 shown]
	v_add_f32_e32 v7, v11, v25
	v_sub_f32_e32 v10, v31, v80
	v_mov_b32_e32 v11, v9
	v_fmac_f32_e32 v9, 0xbf5db3d7, v10
	v_fmac_f32_e32 v11, 0x3f5db3d7, v10
	v_add_f32_e32 v10, v31, v80
	v_fma_f32 v10, -0.5, v10, v12
	v_add_f32_e32 v8, v12, v31
	v_sub_f32_e32 v13, v25, v17
	v_mov_b32_e32 v12, v10
	v_add_f32_e32 v14, v18, v33
	v_fmac_f32_e32 v12, 0xbf5db3d7, v13
	v_fmac_f32_e32 v10, 0x3f5db3d7, v13
	v_add_f32_e32 v13, v0, v18
	v_fma_f32 v0, -0.5, v14, v0
	v_sub_f32_e32 v14, v82, v84
	v_mov_b32_e32 v15, v0
	v_add_f32_e32 v16, v82, v84
	v_fmac_f32_e32 v15, 0x3f5db3d7, v14
	v_fmac_f32_e32 v0, 0xbf5db3d7, v14
	v_add_f32_e32 v14, v1, v82
	v_fmac_f32_e32 v1, -0.5, v16
	v_add_f32_e32 v7, v7, v17
	v_sub_f32_e32 v17, v18, v33
	v_mov_b32_e32 v16, v1
	v_add_f32_e32 v18, v38, v39
	v_fmac_f32_e32 v16, 0xbf5db3d7, v17
	v_fmac_f32_e32 v1, 0x3f5db3d7, v17
	v_add_f32_e32 v17, v57, v38
	v_fma_f32 v57, -0.5, v18, v57
	v_sub_f32_e32 v18, v86, v88
	v_mov_b32_e32 v37, v57
	v_add_f32_e32 v25, v86, v88
	v_fmac_f32_e32 v37, 0x3f5db3d7, v18
	v_fmac_f32_e32 v57, 0xbf5db3d7, v18
	v_add_f32_e32 v18, v58, v86
	v_fmac_f32_e32 v58, -0.5, v25
	v_sub_f32_e32 v25, v38, v39
	v_mov_b32_e32 v38, v58
	v_fmac_f32_e32 v38, 0xbf5db3d7, v25
	v_fmac_f32_e32 v58, 0x3f5db3d7, v25
	v_add_f32_e32 v25, v59, v42
	v_add_f32_e32 v17, v17, v39
	;; [unrolled: 1-line block ×4, first 2 shown]
	v_fma_f32 v59, -0.5, v25, v59
	v_sub_f32_e32 v25, v90, v92
	v_mov_b32_e32 v41, v59
	v_fmac_f32_e32 v41, 0x3f5db3d7, v25
	v_fmac_f32_e32 v59, 0xbf5db3d7, v25
	v_add_f32_e32 v25, v60, v90
	v_add_f32_e32 v40, v25, v92
	v_add_f32_e32 v25, v90, v92
	v_fmac_f32_e32 v60, -0.5, v25
	v_sub_f32_e32 v25, v42, v43
	v_mov_b32_e32 v42, v60
	v_fmac_f32_e32 v42, 0xbf5db3d7, v25
	v_fmac_f32_e32 v60, 0x3f5db3d7, v25
	v_add_f32_e32 v25, v61, v46
	v_add_f32_e32 v43, v25, v47
	v_add_f32_e32 v25, v46, v47
	v_fma_f32 v61, -0.5, v25, v61
	v_sub_f32_e32 v25, v94, v96
	v_mov_b32_e32 v45, v61
	v_fmac_f32_e32 v45, 0x3f5db3d7, v25
	v_fmac_f32_e32 v61, 0xbf5db3d7, v25
	v_add_f32_e32 v25, v62, v94
	v_add_f32_e32 v44, v25, v96
	v_add_f32_e32 v25, v94, v96
	v_fmac_f32_e32 v62, -0.5, v25
	v_sub_f32_e32 v25, v46, v47
	v_mov_b32_e32 v46, v62
	v_fmac_f32_e32 v46, 0xbf5db3d7, v25
	v_fmac_f32_e32 v62, 0x3f5db3d7, v25
	v_add_f32_e32 v25, v74, v50
	v_add_f32_e32 v47, v25, v51
	v_add_f32_e32 v25, v50, v51
	;; [unrolled: 16-line block ×3, first 2 shown]
	v_fma_f32 v78, -0.5, v25, v78
	v_sub_f32_e32 v25, v102, v103
	v_mov_b32_e32 v53, v78
	v_fmac_f32_e32 v53, 0x3f5db3d7, v25
	v_fmac_f32_e32 v78, 0xbf5db3d7, v25
	v_add_f32_e32 v25, v79, v102
	v_add_f32_e32 v52, v25, v103
	;; [unrolled: 1-line block ×3, first 2 shown]
	v_fmac_f32_e32 v79, -0.5, v25
	v_sub_f32_e32 v25, v54, v55
	v_mov_b32_e32 v54, v79
	v_lshrrev_b32_e32 v31, 3, v24
	v_fmac_f32_e32 v54, 0xbf5db3d7, v25
	v_fmac_f32_e32 v79, 0x3f5db3d7, v25
	v_lshrrev_b32_e32 v25, 3, v20
	v_mul_lo_u32 v31, v31, 24
	v_mul_u32_u24_e32 v25, 24, v25
	v_or_b32_e32 v25, v25, v19
	v_add_f32_e32 v8, v8, v80
	v_lshl_add_u32 v25, v25, 3, 0
	ds_write2_b64 v25, v[7:8], v[11:12] offset1:8
	ds_write_b64 v25, v[9:10] offset:128
	v_or_b32_e32 v7, v31, v19
	v_lshrrev_b32_e32 v8, 3, v36
	v_add_f32_e32 v13, v13, v33
	v_add_f32_e32 v14, v14, v84
	v_mul_lo_u32 v8, v8, 24
	v_lshl_add_u32 v7, v7, 3, 0
	ds_write2_b64 v7, v[13:14], v[15:16] offset1:8
	ds_write_b64 v7, v[0:1] offset:128
	v_lshrrev_b32_e32 v1, 3, v35
	v_mul_lo_u32 v1, v1, 24
	v_or_b32_e32 v0, v8, v19
	v_add_f32_e32 v18, v18, v88
	v_lshl_add_u32 v0, v0, 3, 0
	ds_write2_b64 v0, v[17:18], v[37:38] offset1:8
	ds_write_b64 v0, v[57:58] offset:128
	v_or_b32_e32 v0, v1, v19
	v_lshrrev_b32_e32 v1, 3, v30
	v_mul_lo_u32 v1, v1, 24
	v_lshl_add_u32 v0, v0, 3, 0
	ds_write2_b64 v0, v[39:40], v[41:42] offset1:8
	ds_write_b64 v0, v[59:60] offset:128
	v_add_u32_e32 v7, 0x800, v63
	v_or_b32_e32 v0, v1, v19
	v_lshrrev_b32_e32 v1, 3, v32
	v_mul_lo_u32 v1, v1, 24
	v_lshl_add_u32 v0, v0, 3, 0
	ds_write2_b64 v0, v[43:44], v[45:46] offset1:8
	ds_write_b64 v0, v[61:62] offset:128
	v_or_b32_e32 v0, v1, v19
	v_lshrrev_b32_e32 v1, 3, v34
	v_mul_lo_u32 v1, v1, 24
	v_lshl_add_u32 v0, v0, 3, 0
	ds_write2_b64 v0, v[47:48], v[49:50] offset1:8
	ds_write_b64 v0, v[74:75] offset:128
	v_or_b32_e32 v0, v1, v19
	v_lshl_add_u32 v0, v0, 3, 0
	ds_write2_b64 v0, v[51:52], v[53:54] offset1:8
	ds_write_b64 v0, v[78:79] offset:128
	v_mul_lo_u16_sdwa v0, v20, s2 dst_sel:DWORD dst_unused:UNUSED_PAD src0_sel:BYTE_0 src1_sel:DWORD
	v_lshrrev_b16_e32 v25, 12, v0
	v_mul_lo_u16_e32 v0, 24, v25
	v_sub_u16_e32 v31, v20, v0
	v_mov_b32_e32 v0, 6
	v_mul_u32_u24_sdwa v1, v31, v0 dst_sel:DWORD dst_unused:UNUSED_PAD src0_sel:BYTE_0 src1_sel:DWORD
	v_lshlrev_b32_e32 v1, 3, v1
	s_waitcnt lgkmcnt(0)
	; wave barrier
	s_waitcnt lgkmcnt(0)
	global_load_dwordx4 v[8:11], v1, s[8:9] offset:176
	global_load_dwordx4 v[12:15], v1, s[8:9] offset:192
	global_load_dwordx4 v[16:19], v1, s[8:9] offset:208
	v_mul_lo_u16_sdwa v1, v24, s2 dst_sel:DWORD dst_unused:UNUSED_PAD src0_sel:BYTE_0 src1_sel:DWORD
	v_lshrrev_b16_e32 v33, 12, v1
	v_mul_lo_u16_e32 v1, 24, v33
	v_sub_u16_e32 v112, v24, v1
	v_mul_u32_u24_sdwa v1, v112, v0 dst_sel:DWORD dst_unused:UNUSED_PAD src0_sel:BYTE_0 src1_sel:DWORD
	v_lshlrev_b32_e32 v1, 3, v1
	global_load_dwordx4 v[37:40], v1, s[8:9] offset:176
	global_load_dwordx4 v[41:44], v1, s[8:9] offset:192
	;; [unrolled: 1-line block ×3, first 2 shown]
	v_mul_lo_u16_sdwa v1, v36, s2 dst_sel:DWORD dst_unused:UNUSED_PAD src0_sel:BYTE_0 src1_sel:DWORD
	v_lshrrev_b16_e32 v113, 12, v1
	v_mul_lo_u16_e32 v1, 24, v113
	v_sub_u16_e32 v114, v36, v1
	v_mul_u32_u24_sdwa v0, v114, v0 dst_sel:DWORD dst_unused:UNUSED_PAD src0_sel:BYTE_0 src1_sel:DWORD
	v_lshlrev_b32_e32 v0, 3, v0
	global_load_dwordx4 v[49:52], v0, s[8:9] offset:176
	global_load_dwordx4 v[53:56], v0, s[8:9] offset:192
	;; [unrolled: 1-line block ×3, first 2 shown]
	ds_read2_b64 v[74:77], v63 offset1:224
	ds_read_b64 v[0:1], v72
	ds_read_b64 v[61:62], v69
	ds_read2_b64 v[78:81], v6 offset0:104 offset1:160
	ds_read2_b64 v[82:85], v4 offset0:72 offset1:128
	ds_read2_b64 v[86:89], v4 offset0:184 offset1:240
	ds_read_b64 v[106:107], v68
	ds_read2_b64 v[90:93], v7 offset0:24 offset1:136
	ds_read_b64 v[108:109], v66
	ds_read2_b64 v[94:97], v3 offset0:64 offset1:176
	ds_read2_b64 v[98:101], v2 offset0:88 offset1:144
	;; [unrolled: 1-line block ×3, first 2 shown]
	ds_read_b64 v[110:111], v67
	v_mul_u32_u24_e32 v25, 0x540, v25
	s_waitcnt lgkmcnt(0)
	; wave barrier
	s_waitcnt vmcnt(8) lgkmcnt(0)
	v_mul_f32_e32 v115, v9, v109
	v_mul_f32_e32 v9, v9, v108
	v_fma_f32 v115, v8, v108, -v115
	v_fmac_f32_e32 v9, v8, v109
	v_mul_f32_e32 v8, v11, v1
	v_fma_f32 v8, v10, v0, -v8
	v_mul_f32_e32 v0, v11, v0
	v_fmac_f32_e32 v0, v10, v1
	s_waitcnt vmcnt(7)
	v_mul_f32_e32 v1, v13, v62
	v_mul_f32_e32 v10, v13, v61
	v_fma_f32 v1, v12, v61, -v1
	v_fmac_f32_e32 v10, v12, v62
	v_mul_f32_e32 v11, v15, v81
	v_mul_f32_e32 v12, v15, v80
	v_fma_f32 v11, v14, v80, -v11
	v_fmac_f32_e32 v12, v14, v81
	s_waitcnt vmcnt(6)
	v_mul_f32_e32 v13, v83, v17
	v_mul_f32_e32 v14, v82, v17
	s_waitcnt vmcnt(5)
	v_mul_f32_e32 v17, v77, v38
	v_fma_f32 v61, v76, v37, -v17
	v_mul_f32_e32 v38, v76, v38
	v_mul_f32_e32 v17, v93, v40
	v_fmac_f32_e32 v38, v77, v37
	v_fma_f32 v37, v92, v39, -v17
	v_mul_f32_e32 v40, v92, v40
	s_waitcnt vmcnt(4)
	v_mul_f32_e32 v17, v97, v42
	v_fmac_f32_e32 v40, v93, v39
	v_fma_f32 v39, v96, v41, -v17
	v_mul_f32_e32 v42, v96, v42
	v_mul_f32_e32 v17, v99, v44
	v_fmac_f32_e32 v42, v97, v41
	v_fma_f32 v41, v98, v43, -v17
	v_mul_f32_e32 v44, v98, v44
	s_waitcnt vmcnt(3)
	v_mul_f32_e32 v17, v85, v46
	v_fmac_f32_e32 v44, v99, v43
	v_fma_f32 v43, v84, v45, -v17
	v_mul_f32_e32 v46, v84, v46
	v_mul_f32_e32 v17, v103, v48
	v_fmac_f32_e32 v46, v85, v45
	v_fma_f32 v45, v102, v47, -v17
	s_waitcnt vmcnt(2)
	v_mul_f32_e32 v17, v91, v50
	v_fma_f32 v62, v90, v49, -v17
	v_mul_f32_e32 v17, v95, v52
	v_fma_f32 v77, v94, v51, -v17
	v_mul_f32_e32 v52, v94, v52
	s_waitcnt vmcnt(1)
	v_mul_f32_e32 v17, v79, v54
	v_fmac_f32_e32 v52, v95, v51
	v_fma_f32 v51, v78, v53, -v17
	v_mul_f32_e32 v54, v78, v54
	v_mul_f32_e32 v17, v101, v56
	v_fma_f32 v13, v82, v16, -v13
	v_fmac_f32_e32 v14, v83, v16
	v_mul_f32_e32 v15, v89, v19
	v_mul_f32_e32 v16, v88, v19
	v_fmac_f32_e32 v54, v79, v53
	v_fma_f32 v53, v100, v55, -v17
	v_mul_f32_e32 v56, v100, v56
	s_waitcnt vmcnt(0)
	v_mul_f32_e32 v17, v87, v58
	v_fma_f32 v15, v88, v18, -v15
	v_fmac_f32_e32 v16, v89, v18
	v_fmac_f32_e32 v56, v101, v55
	v_fma_f32 v55, v86, v57, -v17
	v_mul_f32_e32 v58, v86, v58
	v_mul_f32_e32 v17, v105, v60
	v_fmac_f32_e32 v58, v87, v57
	v_fma_f32 v57, v104, v59, -v17
	v_add_f32_e32 v17, v115, v15
	v_add_f32_e32 v18, v9, v16
	v_sub_f32_e32 v9, v9, v16
	v_add_f32_e32 v16, v8, v13
	v_add_f32_e32 v19, v0, v14
	v_sub_f32_e32 v8, v8, v13
	v_add_f32_e32 v13, v1, v11
	v_sub_f32_e32 v1, v11, v1
	v_add_f32_e32 v11, v16, v17
	v_mul_f32_e32 v60, v104, v60
	v_sub_f32_e32 v0, v0, v14
	v_add_f32_e32 v14, v10, v12
	v_sub_f32_e32 v10, v12, v10
	v_add_f32_e32 v12, v19, v18
	v_add_f32_e32 v11, v13, v11
	v_mul_f32_e32 v48, v102, v48
	v_mul_f32_e32 v76, v90, v50
	v_fmac_f32_e32 v60, v105, v59
	v_sub_f32_e32 v15, v115, v15
	v_add_f32_e32 v50, v1, v8
	v_add_f32_e32 v59, v10, v0
	v_sub_f32_e32 v78, v1, v8
	v_sub_f32_e32 v79, v10, v0
	;; [unrolled: 1-line block ×3, first 2 shown]
	v_add_f32_e32 v12, v14, v12
	v_add_f32_e32 v0, v11, v74
	v_fmac_f32_e32 v48, v103, v47
	v_fmac_f32_e32 v76, v91, v49
	v_sub_f32_e32 v47, v16, v17
	v_sub_f32_e32 v49, v19, v18
	;; [unrolled: 1-line block ×8, first 2 shown]
	v_add_f32_e32 v13, v50, v15
	v_add_f32_e32 v1, v12, v75
	v_mul_f32_e32 v50, 0xbf08b237, v78
	v_mov_b32_e32 v78, v0
	v_sub_f32_e32 v10, v9, v10
	v_add_f32_e32 v9, v59, v9
	v_mul_f32_e32 v14, 0x3f4a47b2, v17
	v_mul_f32_e32 v15, 0x3f4a47b2, v18
	v_mul_f32_e32 v17, 0x3d64c772, v16
	v_mul_f32_e32 v18, 0x3d64c772, v19
	v_mul_f32_e32 v59, 0xbf08b237, v79
	v_mul_f32_e32 v74, 0x3f5ff5aa, v8
	v_mul_f32_e32 v75, 0x3f5ff5aa, v81
	v_fmac_f32_e32 v78, 0xbf955555, v11
	v_mov_b32_e32 v11, v1
	v_fmac_f32_e32 v11, 0xbf955555, v12
	v_fma_f32 v12, v47, s6, -v17
	v_fma_f32 v17, v49, s6, -v18
	;; [unrolled: 1-line block ×3, first 2 shown]
	v_fmac_f32_e32 v14, 0x3d64c772, v16
	v_fma_f32 v16, v49, s5, -v15
	v_fmac_f32_e32 v15, 0x3d64c772, v19
	v_fma_f32 v47, v81, s4, -v59
	v_fma_f32 v49, v80, s7, -v74
	;; [unrolled: 1-line block ×4, first 2 shown]
	v_fmac_f32_e32 v50, 0x3eae86e6, v80
	v_add_f32_e32 v75, v14, v78
	v_add_f32_e32 v79, v15, v11
	;; [unrolled: 1-line block ×6, first 2 shown]
	v_fmac_f32_e32 v47, 0x3ee1c552, v9
	v_fmac_f32_e32 v49, 0x3ee1c552, v13
	v_fmac_f32_e32 v74, 0x3ee1c552, v9
	v_fmac_f32_e32 v59, 0x3eae86e6, v10
	v_fmac_f32_e32 v50, 0x3ee1c552, v13
	v_fmac_f32_e32 v19, 0x3ee1c552, v13
	v_add_f32_e32 v10, v74, v17
	v_sub_f32_e32 v11, v18, v49
	v_sub_f32_e32 v12, v14, v47
	v_add_f32_e32 v14, v47, v14
	v_sub_f32_e32 v16, v17, v74
	v_add_f32_e32 v17, v49, v18
	v_add_f32_e32 v47, v61, v45
	;; [unrolled: 1-line block ×3, first 2 shown]
	v_sub_f32_e32 v38, v38, v48
	v_add_f32_e32 v48, v37, v43
	v_fmac_f32_e32 v59, 0x3ee1c552, v9
	v_sub_f32_e32 v9, v79, v50
	v_add_f32_e32 v13, v19, v15
	v_sub_f32_e32 v15, v15, v19
	v_add_f32_e32 v19, v50, v79
	v_add_f32_e32 v50, v40, v46
	v_sub_f32_e32 v37, v37, v43
	v_sub_f32_e32 v40, v40, v46
	v_add_f32_e32 v43, v39, v41
	v_add_f32_e32 v46, v42, v44
	v_sub_f32_e32 v39, v41, v39
	v_sub_f32_e32 v41, v44, v42
	v_add_f32_e32 v42, v48, v47
	v_sub_f32_e32 v45, v61, v45
	v_add_f32_e32 v44, v50, v49
	v_add_f32_e32 v42, v43, v42
	v_add_f32_e32 v8, v59, v75
	v_sub_f32_e32 v18, v75, v59
	v_sub_f32_e32 v59, v48, v47
	;; [unrolled: 1-line block ×4, first 2 shown]
	v_add_f32_e32 v74, v39, v37
	v_add_f32_e32 v75, v41, v40
	v_sub_f32_e32 v78, v39, v37
	v_sub_f32_e32 v80, v37, v45
	v_add_f32_e32 v43, v46, v44
	v_add_f32_e32 v37, v42, v106
	v_sub_f32_e32 v61, v50, v49
	v_sub_f32_e32 v49, v49, v46
	;; [unrolled: 1-line block ×7, first 2 shown]
	v_add_f32_e32 v44, v74, v45
	v_add_f32_e32 v45, v75, v38
	;; [unrolled: 1-line block ×3, first 2 shown]
	v_mov_b32_e32 v82, v37
	v_mul_f32_e32 v46, 0x3f4a47b2, v47
	v_mul_f32_e32 v47, 0x3f4a47b2, v49
	;; [unrolled: 1-line block ×7, first 2 shown]
	v_fmac_f32_e32 v82, 0xbf955555, v42
	v_mov_b32_e32 v42, v38
	v_mul_f32_e32 v81, 0x3f5ff5aa, v40
	v_fmac_f32_e32 v42, 0xbf955555, v43
	v_fma_f32 v43, v59, s6, -v49
	v_fma_f32 v49, v61, s6, -v74
	;; [unrolled: 1-line block ×3, first 2 shown]
	v_fmac_f32_e32 v46, 0x3d64c772, v48
	v_fma_f32 v48, v61, s5, -v47
	v_fmac_f32_e32 v47, 0x3d64c772, v50
	v_fma_f32 v50, v80, s4, -v75
	;; [unrolled: 2-line block ×3, first 2 shown]
	v_fma_f32 v74, v39, s7, -v79
	v_fmac_f32_e32 v78, 0x3eae86e6, v41
	v_fma_f32 v79, v41, s7, -v81
	v_add_f32_e32 v80, v46, v82
	v_add_f32_e32 v81, v47, v42
	;; [unrolled: 1-line block ×6, first 2 shown]
	v_fmac_f32_e32 v75, 0x3ee1c552, v44
	v_fmac_f32_e32 v50, 0x3ee1c552, v44
	;; [unrolled: 1-line block ×4, first 2 shown]
	v_add_f32_e32 v59, v62, v57
	v_sub_f32_e32 v57, v62, v57
	v_add_f32_e32 v62, v77, v55
	v_fmac_f32_e32 v78, 0x3ee1c552, v45
	v_fmac_f32_e32 v79, 0x3ee1c552, v45
	v_sub_f32_e32 v40, v81, v75
	v_sub_f32_e32 v42, v48, v74
	;; [unrolled: 1-line block ×3, first 2 shown]
	v_add_f32_e32 v44, v50, v47
	v_add_f32_e32 v45, v61, v46
	v_sub_f32_e32 v46, v47, v50
	v_add_f32_e32 v48, v74, v48
	v_add_f32_e32 v50, v75, v81
	;; [unrolled: 1-line block ×4, first 2 shown]
	v_sub_f32_e32 v52, v52, v58
	v_add_f32_e32 v58, v51, v53
	v_add_f32_e32 v75, v54, v56
	v_sub_f32_e32 v51, v53, v51
	v_sub_f32_e32 v53, v56, v54
	v_add_f32_e32 v54, v62, v59
	v_sub_f32_e32 v55, v77, v55
	v_add_f32_e32 v56, v74, v61
	v_add_f32_e32 v54, v58, v54
	;; [unrolled: 1-line block ×4, first 2 shown]
	v_sub_f32_e32 v47, v49, v79
	v_sub_f32_e32 v49, v80, v78
	;; [unrolled: 1-line block ×3, first 2 shown]
	v_add_f32_e32 v78, v51, v55
	v_sub_f32_e32 v80, v51, v55
	v_sub_f32_e32 v82, v57, v51
	v_add_f32_e32 v56, v75, v56
	v_add_f32_e32 v51, v54, v110
	v_sub_f32_e32 v76, v62, v59
	v_sub_f32_e32 v77, v74, v61
	;; [unrolled: 1-line block ×6, first 2 shown]
	v_add_f32_e32 v79, v53, v52
	v_sub_f32_e32 v81, v53, v52
	v_sub_f32_e32 v83, v52, v60
	v_add_f32_e32 v52, v56, v111
	v_mov_b32_e32 v84, v51
	v_sub_f32_e32 v53, v60, v53
	v_sub_f32_e32 v55, v55, v57
	v_add_f32_e32 v58, v79, v60
	v_mul_f32_e32 v59, 0x3f4a47b2, v59
	v_mul_f32_e32 v60, 0x3f4a47b2, v61
	;; [unrolled: 1-line block ×5, first 2 shown]
	v_fmac_f32_e32 v84, 0xbf955555, v54
	v_mov_b32_e32 v54, v52
	v_add_f32_e32 v57, v78, v57
	v_mul_f32_e32 v78, 0xbf08b237, v80
	v_mul_f32_e32 v80, 0x3f5ff5aa, v55
	;; [unrolled: 1-line block ×3, first 2 shown]
	v_fmac_f32_e32 v54, 0xbf955555, v56
	v_fma_f32 v56, v76, s6, -v61
	v_fma_f32 v61, v77, s6, -v75
	;; [unrolled: 1-line block ×3, first 2 shown]
	v_fmac_f32_e32 v59, 0x3d64c772, v62
	v_fma_f32 v76, v83, s4, -v79
	v_fma_f32 v62, v77, s5, -v60
	v_fmac_f32_e32 v60, 0x3d64c772, v74
	v_fma_f32 v74, v55, s4, -v78
	v_fmac_f32_e32 v78, 0x3eae86e6, v82
	v_fma_f32 v77, v82, s7, -v80
	v_fma_f32 v80, v53, s7, -v81
	v_add_f32_e32 v81, v59, v84
	v_add_f32_e32 v59, v56, v84
	v_fmac_f32_e32 v76, 0x3ee1c552, v58
	v_fmac_f32_e32 v78, 0x3ee1c552, v57
	;; [unrolled: 1-line block ×4, first 2 shown]
	v_sub_f32_e32 v57, v59, v76
	v_add_f32_e32 v59, v76, v59
	v_mov_b32_e32 v76, 3
	v_lshlrev_b32_sdwa v31, v76, v31 dst_sel:DWORD dst_unused:UNUSED_PAD src0_sel:DWORD src1_sel:BYTE_0
	v_add3_u32 v25, 0, v25, v31
	ds_write2_b64 v25, v[0:1], v[8:9] offset1:24
	ds_write2_b64 v25, v[10:11], v[12:13] offset0:48 offset1:72
	ds_write2_b64 v25, v[14:15], v[16:17] offset0:96 offset1:120
	ds_write_b64 v25, v[18:19] offset:1152
	v_mul_u32_u24_e32 v0, 0x540, v33
	v_lshlrev_b32_sdwa v1, v76, v112 dst_sel:DWORD dst_unused:UNUSED_PAD src0_sel:DWORD src1_sel:BYTE_0
	v_fmac_f32_e32 v79, 0x3eae86e6, v53
	v_add3_u32 v0, 0, v0, v1
	v_add_f32_e32 v82, v60, v54
	v_fmac_f32_e32 v79, 0x3ee1c552, v58
	ds_write2_b64 v0, v[37:38], v[39:40] offset1:24
	ds_write2_b64 v0, v[41:42], v[43:44] offset0:48 offset1:72
	ds_write2_b64 v0, v[45:46], v[47:48] offset0:96 offset1:120
	ds_write_b64 v0, v[49:50] offset:1152
	v_mul_u32_u24_e32 v0, 0x540, v113
	v_lshlrev_b32_sdwa v1, v76, v114 dst_sel:DWORD dst_unused:UNUSED_PAD src0_sel:DWORD src1_sel:BYTE_0
	v_add_f32_e32 v60, v61, v54
	v_add_f32_e32 v61, v75, v84
	;; [unrolled: 1-line block ×3, first 2 shown]
	v_fmac_f32_e32 v80, 0x3ee1c552, v58
	v_add_f32_e32 v53, v79, v81
	v_sub_f32_e32 v54, v82, v78
	v_add3_u32 v0, 0, v0, v1
	v_add_f32_e32 v55, v80, v61
	v_sub_f32_e32 v56, v62, v77
	v_add_f32_e32 v58, v74, v60
	v_sub_f32_e32 v60, v60, v74
	v_sub_f32_e32 v61, v61, v80
	v_add_f32_e32 v62, v77, v62
	v_sub_f32_e32 v74, v81, v79
	v_add_f32_e32 v75, v78, v82
	ds_write2_b64 v0, v[51:52], v[53:54] offset1:24
	ds_write2_b64 v0, v[55:56], v[57:58] offset0:48 offset1:72
	ds_write2_b64 v0, v[59:60], v[61:62] offset0:96 offset1:120
	ds_write_b64 v0, v[74:75] offset:1152
	v_mul_u32_u24_e32 v0, 6, v20
	v_lshlrev_b32_e32 v0, 3, v0
	s_waitcnt lgkmcnt(0)
	; wave barrier
	s_waitcnt lgkmcnt(0)
	global_load_dwordx4 v[8:11], v0, s[8:9] offset:1328
	global_load_dwordx4 v[12:15], v0, s[8:9] offset:1344
	global_load_dwordx4 v[16:19], v0, s[8:9] offset:1360
	v_mul_i32_i24_e32 v0, 6, v24
	v_mov_b32_e32 v1, 0
	v_lshlrev_b64 v[37:38], 3, v[0:1]
	v_mov_b32_e32 v25, s9
	v_add_co_u32_e64 v49, s[2:3], s8, v37
	v_addc_co_u32_e64 v50, s[2:3], v25, v38, s[2:3]
	v_mul_i32_i24_e32 v0, 6, v36
	global_load_dwordx4 v[37:40], v[49:50], off offset:1328
	global_load_dwordx4 v[41:44], v[49:50], off offset:1344
	;; [unrolled: 1-line block ×3, first 2 shown]
	v_lshlrev_b64 v[49:50], 3, v[0:1]
	v_add_co_u32_e64 v61, s[2:3], s8, v49
	v_addc_co_u32_e64 v62, s[2:3], v25, v50, s[2:3]
	global_load_dwordx4 v[49:52], v[61:62], off offset:1328
	global_load_dwordx4 v[53:56], v[61:62], off offset:1344
	;; [unrolled: 1-line block ×3, first 2 shown]
	ds_read2_b64 v[74:77], v63 offset1:224
	ds_read_b64 v[61:62], v72
	ds_read_b64 v[102:103], v69
	ds_read2_b64 v[78:81], v6 offset0:104 offset1:160
	ds_read2_b64 v[82:85], v4 offset0:72 offset1:128
	;; [unrolled: 1-line block ×3, first 2 shown]
	ds_read_b64 v[104:105], v68
	ds_read2_b64 v[90:93], v7 offset0:24 offset1:136
	ds_read_b64 v[106:107], v66
	ds_read2_b64 v[94:97], v3 offset0:64 offset1:176
	ds_read2_b64 v[98:101], v2 offset0:88 offset1:144
	;; [unrolled: 1-line block ×3, first 2 shown]
	ds_read_b64 v[108:109], v67
	s_waitcnt lgkmcnt(0)
	; wave barrier
	s_waitcnt lgkmcnt(0)
	v_cmp_ne_u32_e64 s[2:3], 0, v20
	s_waitcnt vmcnt(8)
	v_mul_f32_e32 v0, v9, v107
	v_mul_f32_e32 v9, v9, v106
	v_fma_f32 v0, v8, v106, -v0
	v_fmac_f32_e32 v9, v8, v107
	v_mul_f32_e32 v8, v11, v62
	v_mul_f32_e32 v11, v11, v61
	v_fma_f32 v8, v10, v61, -v8
	v_fmac_f32_e32 v11, v10, v62
	s_waitcnt vmcnt(7)
	v_mul_f32_e32 v10, v13, v103
	v_mul_f32_e32 v13, v13, v102
	s_waitcnt vmcnt(5)
	v_mul_f32_e32 v31, v93, v40
	v_mul_f32_e32 v33, v92, v40
	v_fma_f32 v31, v92, v39, -v31
	v_fmac_f32_e32 v33, v93, v39
	s_waitcnt vmcnt(4)
	v_mul_f32_e32 v39, v99, v44
	v_mul_f32_e32 v40, v98, v44
	v_fma_f32 v39, v98, v43, -v39
	v_fmac_f32_e32 v40, v99, v43
	s_waitcnt vmcnt(3)
	v_mul_f32_e32 v43, v4, v48
	v_fma_f32 v43, v3, v47, -v43
	v_mul_f32_e32 v44, v3, v48
	s_waitcnt vmcnt(2)
	v_mul_f32_e32 v3, v91, v50
	v_fma_f32 v61, v90, v49, -v3
	v_mul_f32_e32 v50, v90, v50
	v_mul_f32_e32 v3, v95, v52
	v_fma_f32 v10, v12, v102, -v10
	v_fmac_f32_e32 v13, v12, v103
	v_mul_f32_e32 v12, v15, v81
	v_mul_f32_e32 v15, v15, v80
	v_fmac_f32_e32 v50, v91, v49
	v_fma_f32 v49, v94, v51, -v3
	v_mul_f32_e32 v52, v94, v52
	s_waitcnt vmcnt(1)
	v_mul_f32_e32 v3, v79, v54
	v_fma_f32 v12, v14, v80, -v12
	v_fmac_f32_e32 v15, v14, v81
	v_mul_f32_e32 v14, v83, v17
	v_mul_f32_e32 v17, v82, v17
	v_fmac_f32_e32 v52, v95, v51
	v_fma_f32 v51, v78, v53, -v3
	v_mul_f32_e32 v54, v78, v54
	v_mul_f32_e32 v3, v101, v56
	v_fma_f32 v14, v82, v16, -v14
	v_fmac_f32_e32 v17, v83, v16
	v_mul_f32_e32 v16, v89, v19
	v_mul_f32_e32 v19, v88, v19
	v_fmac_f32_e32 v54, v79, v53
	v_fma_f32 v53, v100, v55, -v3
	v_mul_f32_e32 v56, v100, v56
	s_waitcnt vmcnt(0)
	v_mul_f32_e32 v3, v87, v58
	v_fma_f32 v16, v88, v18, -v16
	v_fmac_f32_e32 v19, v89, v18
	v_mul_f32_e32 v18, v77, v38
	v_mul_f32_e32 v25, v76, v38
	v_fmac_f32_e32 v56, v101, v55
	v_fma_f32 v55, v86, v57, -v3
	v_mul_f32_e32 v58, v86, v58
	v_mul_f32_e32 v3, v6, v60
	;; [unrolled: 1-line block ×3, first 2 shown]
	v_fma_f32 v18, v76, v37, -v18
	v_fmac_f32_e32 v25, v77, v37
	v_mul_f32_e32 v37, v97, v42
	v_mul_f32_e32 v38, v96, v42
	v_fmac_f32_e32 v58, v87, v57
	v_fma_f32 v57, v5, v59, -v3
	v_fmac_f32_e32 v60, v6, v59
	v_add_f32_e32 v3, v0, v16
	v_add_f32_e32 v6, v8, v14
	v_fma_f32 v37, v96, v41, -v37
	v_fmac_f32_e32 v38, v97, v41
	v_mul_f32_e32 v41, v85, v46
	v_mul_f32_e32 v42, v84, v46
	v_fmac_f32_e32 v44, v4, v47
	v_add_f32_e32 v4, v9, v19
	v_sub_f32_e32 v0, v0, v16
	v_sub_f32_e32 v5, v9, v19
	v_add_f32_e32 v9, v11, v17
	v_sub_f32_e32 v8, v8, v14
	v_add_f32_e32 v14, v10, v12
	v_add_f32_e32 v16, v13, v15
	v_sub_f32_e32 v10, v12, v10
	v_sub_f32_e32 v12, v15, v13
	v_add_f32_e32 v13, v6, v3
	v_fma_f32 v41, v84, v45, -v41
	v_fmac_f32_e32 v42, v85, v45
	v_sub_f32_e32 v11, v11, v17
	v_add_f32_e32 v15, v9, v4
	v_sub_f32_e32 v17, v6, v3
	v_sub_f32_e32 v45, v3, v14
	v_add_f32_e32 v3, v10, v8
	v_add_f32_e32 v13, v14, v13
	v_sub_f32_e32 v19, v9, v4
	v_sub_f32_e32 v46, v4, v16
	;; [unrolled: 1-line block ×3, first 2 shown]
	v_add_f32_e32 v4, v12, v11
	v_sub_f32_e32 v47, v10, v8
	v_sub_f32_e32 v10, v0, v10
	;; [unrolled: 1-line block ×3, first 2 shown]
	v_add_f32_e32 v14, v16, v15
	v_add_f32_e32 v0, v3, v0
	;; [unrolled: 1-line block ×3, first 2 shown]
	v_sub_f32_e32 v9, v16, v9
	v_sub_f32_e32 v48, v12, v11
	;; [unrolled: 1-line block ×4, first 2 shown]
	v_add_f32_e32 v5, v4, v5
	v_add_f32_e32 v4, v75, v14
	v_mov_b32_e32 v74, v3
	v_mul_f32_e32 v15, 0x3f4a47b2, v45
	v_mul_f32_e32 v16, 0x3f4a47b2, v46
	;; [unrolled: 1-line block ×6, first 2 shown]
	v_fmac_f32_e32 v74, 0xbf955555, v13
	v_mov_b32_e32 v13, v4
	v_mul_f32_e32 v48, 0xbf08b237, v48
	v_mul_f32_e32 v62, 0x3f5ff5aa, v11
	v_fmac_f32_e32 v13, 0xbf955555, v14
	v_fma_f32 v14, v17, s6, -v45
	v_fma_f32 v45, v19, s6, -v46
	;; [unrolled: 1-line block ×3, first 2 shown]
	v_fmac_f32_e32 v15, 0x3d64c772, v6
	v_fma_f32 v6, v19, s5, -v16
	v_fma_f32 v19, v8, s4, -v47
	v_fmac_f32_e32 v47, 0x3eae86e6, v10
	v_fma_f32 v59, v10, s7, -v59
	v_fmac_f32_e32 v16, 0x3d64c772, v9
	v_fma_f32 v46, v11, s4, -v48
	v_fmac_f32_e32 v48, 0x3eae86e6, v12
	v_fma_f32 v62, v12, s7, -v62
	v_add_f32_e32 v12, v14, v74
	v_add_f32_e32 v14, v45, v13
	v_fmac_f32_e32 v47, 0x3ee1c552, v0
	v_fmac_f32_e32 v19, 0x3ee1c552, v0
	v_fmac_f32_e32 v59, 0x3ee1c552, v0
	v_add_f32_e32 v0, v18, v43
	v_sub_f32_e32 v18, v18, v43
	v_add_f32_e32 v43, v31, v41
	v_add_f32_e32 v76, v16, v13
	;; [unrolled: 1-line block ×3, first 2 shown]
	v_fmac_f32_e32 v46, 0x3ee1c552, v5
	v_add_f32_e32 v11, v19, v14
	v_sub_f32_e32 v13, v14, v19
	v_add_f32_e32 v19, v25, v44
	v_sub_f32_e32 v25, v25, v44
	;; [unrolled: 2-line block ×3, first 2 shown]
	v_sub_f32_e32 v33, v33, v42
	v_add_f32_e32 v41, v37, v39
	v_add_f32_e32 v42, v38, v40
	v_sub_f32_e32 v37, v39, v37
	v_add_f32_e32 v39, v43, v0
	v_add_f32_e32 v75, v15, v74
	;; [unrolled: 1-line block ×3, first 2 shown]
	v_fmac_f32_e32 v62, 0x3ee1c552, v5
	v_sub_f32_e32 v6, v76, v47
	v_sub_f32_e32 v10, v12, v46
	v_add_f32_e32 v12, v46, v12
	v_add_f32_e32 v17, v47, v76
	v_sub_f32_e32 v38, v40, v38
	v_add_f32_e32 v40, v44, v19
	v_sub_f32_e32 v46, v44, v19
	v_sub_f32_e32 v47, v19, v42
	v_add_f32_e32 v19, v37, v31
	v_add_f32_e32 v39, v41, v39
	v_fmac_f32_e32 v48, 0x3ee1c552, v5
	v_add_f32_e32 v8, v62, v15
	v_sub_f32_e32 v9, v16, v59
	v_sub_f32_e32 v14, v15, v62
	v_add_f32_e32 v15, v59, v16
	v_sub_f32_e32 v45, v43, v0
	v_sub_f32_e32 v0, v0, v41
	;; [unrolled: 1-line block ×6, first 2 shown]
	v_add_f32_e32 v40, v42, v40
	v_add_f32_e32 v41, v19, v18
	;; [unrolled: 1-line block ×4, first 2 shown]
	v_sub_f32_e32 v16, v75, v48
	v_sub_f32_e32 v44, v42, v44
	v_add_f32_e32 v48, v38, v33
	v_sub_f32_e32 v62, v38, v33
	v_add_f32_e32 v19, v105, v40
	v_mov_b32_e32 v76, v18
	v_sub_f32_e32 v38, v25, v38
	v_sub_f32_e32 v33, v33, v25
	v_add_f32_e32 v25, v48, v25
	v_mul_f32_e32 v0, 0x3f4a47b2, v0
	v_mul_f32_e32 v42, 0x3f4a47b2, v47
	v_mul_f32_e32 v47, 0x3d64c772, v43
	v_mul_f32_e32 v48, 0x3d64c772, v44
	v_mul_f32_e32 v59, 0xbf08b237, v59
	v_mul_f32_e32 v62, 0xbf08b237, v62
	v_fmac_f32_e32 v76, 0xbf955555, v39
	v_mov_b32_e32 v39, v19
	v_mul_f32_e32 v74, 0x3f5ff5aa, v31
	v_mul_f32_e32 v75, 0x3f5ff5aa, v33
	v_fmac_f32_e32 v39, 0xbf955555, v40
	v_fma_f32 v40, v45, s6, -v47
	v_fma_f32 v47, v46, s6, -v48
	;; [unrolled: 1-line block ×3, first 2 shown]
	v_fmac_f32_e32 v0, 0x3d64c772, v43
	v_fma_f32 v31, v31, s4, -v59
	v_fma_f32 v33, v33, s4, -v62
	v_fmac_f32_e32 v62, 0x3eae86e6, v38
	v_fma_f32 v43, v46, s5, -v42
	v_fmac_f32_e32 v42, 0x3d64c772, v44
	v_fmac_f32_e32 v59, 0x3eae86e6, v37
	v_fma_f32 v46, v37, s7, -v74
	v_fma_f32 v48, v38, s7, -v75
	v_add_f32_e32 v0, v0, v76
	v_add_f32_e32 v44, v40, v76
	;; [unrolled: 1-line block ×3, first 2 shown]
	v_fmac_f32_e32 v62, 0x3ee1c552, v25
	v_fmac_f32_e32 v31, 0x3ee1c552, v41
	v_fmac_f32_e32 v33, 0x3ee1c552, v25
	v_add_f32_e32 v74, v42, v39
	v_add_f32_e32 v75, v43, v39
	v_fmac_f32_e32 v59, 0x3ee1c552, v41
	v_fmac_f32_e32 v46, 0x3ee1c552, v41
	;; [unrolled: 1-line block ×3, first 2 shown]
	v_add_f32_e32 v37, v62, v0
	v_sub_f32_e32 v41, v44, v33
	v_add_f32_e32 v42, v31, v47
	v_add_f32_e32 v43, v33, v44
	v_sub_f32_e32 v44, v47, v31
	v_sub_f32_e32 v47, v0, v62
	v_add_f32_e32 v0, v61, v57
	v_add_f32_e32 v25, v50, v60
	v_sub_f32_e32 v33, v50, v60
	v_add_f32_e32 v50, v49, v55
	v_sub_f32_e32 v31, v61, v57
	;; [unrolled: 2-line block ×3, first 2 shown]
	v_sub_f32_e32 v52, v52, v58
	v_add_f32_e32 v55, v51, v53
	v_add_f32_e32 v58, v54, v56
	v_sub_f32_e32 v51, v53, v51
	v_sub_f32_e32 v53, v56, v54
	v_add_f32_e32 v54, v50, v0
	v_add_f32_e32 v45, v45, v76
	;; [unrolled: 1-line block ×4, first 2 shown]
	v_sub_f32_e32 v38, v74, v59
	v_add_f32_e32 v39, v48, v45
	v_sub_f32_e32 v45, v45, v48
	v_add_f32_e32 v48, v59, v74
	v_sub_f32_e32 v59, v50, v0
	v_sub_f32_e32 v0, v0, v55
	;; [unrolled: 1-line block ×3, first 2 shown]
	v_add_f32_e32 v50, v51, v49
	v_sub_f32_e32 v74, v51, v49
	v_sub_f32_e32 v76, v49, v31
	v_add_f32_e32 v55, v58, v56
	v_add_f32_e32 v49, v108, v54
	v_sub_f32_e32 v40, v75, v46
	v_add_f32_e32 v46, v46, v75
	v_sub_f32_e32 v60, v57, v25
	v_sub_f32_e32 v25, v25, v58
	;; [unrolled: 1-line block ×3, first 2 shown]
	v_add_f32_e32 v62, v53, v52
	v_sub_f32_e32 v75, v53, v52
	v_sub_f32_e32 v51, v31, v51
	v_add_f32_e32 v31, v50, v31
	v_add_f32_e32 v50, v109, v55
	v_mov_b32_e32 v78, v49
	v_sub_f32_e32 v53, v33, v53
	v_sub_f32_e32 v52, v52, v33
	v_add_f32_e32 v33, v62, v33
	v_mul_f32_e32 v0, 0x3f4a47b2, v0
	v_mul_f32_e32 v25, 0x3f4a47b2, v25
	;; [unrolled: 1-line block ×7, first 2 shown]
	v_fmac_f32_e32 v78, 0xbf955555, v54
	v_mov_b32_e32 v54, v50
	v_mul_f32_e32 v77, 0x3f5ff5aa, v52
	v_fmac_f32_e32 v54, 0xbf955555, v55
	v_fma_f32 v55, v59, s6, -v56
	v_fma_f32 v56, v60, s6, -v58
	;; [unrolled: 1-line block ×3, first 2 shown]
	v_fmac_f32_e32 v0, 0x3d64c772, v61
	v_fma_f32 v59, v60, s5, -v25
	v_fmac_f32_e32 v25, 0x3d64c772, v57
	v_fma_f32 v60, v76, s4, -v62
	v_fma_f32 v57, v52, s4, -v74
	v_fmac_f32_e32 v74, 0x3eae86e6, v53
	v_fma_f32 v61, v51, s7, -v75
	v_fma_f32 v75, v53, s7, -v77
	v_add_f32_e32 v0, v0, v78
	v_add_f32_e32 v77, v56, v54
	;; [unrolled: 1-line block ×3, first 2 shown]
	v_fmac_f32_e32 v74, 0x3ee1c552, v33
	v_fmac_f32_e32 v60, 0x3ee1c552, v31
	v_fmac_f32_e32 v61, 0x3ee1c552, v31
	v_fmac_f32_e32 v62, 0x3eae86e6, v51
	v_add_f32_e32 v25, v25, v54
	v_add_f32_e32 v76, v55, v78
	;; [unrolled: 1-line block ×4, first 2 shown]
	v_sub_f32_e32 v54, v79, v61
	v_add_f32_e32 v56, v60, v77
	v_sub_f32_e32 v58, v77, v60
	v_add_f32_e32 v60, v61, v79
	v_sub_f32_e32 v61, v0, v74
	v_add_u32_e32 v0, 0x800, v68
	v_fmac_f32_e32 v62, 0x3ee1c552, v31
	v_fmac_f32_e32 v57, 0x3ee1c552, v33
	;; [unrolled: 1-line block ×3, first 2 shown]
	ds_write2_b64 v63, v[3:4], v[5:6] offset1:168
	ds_write2_b64 v7, v[8:9], v[10:11] offset0:80 offset1:248
	ds_write2_b64 v2, v[12:13], v[14:15] offset0:32 offset1:200
	ds_write_b64 v63, v[16:17] offset:8064
	ds_write2_b64 v68, v[18:19], v[37:38] offset1:168
	ds_write2_b64 v0, v[39:40], v[41:42] offset0:80 offset1:248
	v_add_u32_e32 v0, 0x1400, v68
	v_sub_f32_e32 v52, v25, v62
	v_add_f32_e32 v53, v75, v78
	v_sub_f32_e32 v55, v76, v57
	ds_write2_b64 v0, v[43:44], v[45:46] offset0:32 offset1:200
	ds_write_b64 v68, v[47:48] offset:8064
	ds_write2_b64 v67, v[49:50], v[51:52] offset1:168
	v_add_u32_e32 v0, 0x800, v67
	v_add_f32_e32 v57, v57, v76
	v_sub_f32_e32 v59, v78, v75
	ds_write2_b64 v0, v[53:54], v[55:56] offset0:80 offset1:248
	v_add_u32_e32 v0, 0x1400, v67
	v_add_f32_e32 v62, v62, v25
	ds_write2_b64 v0, v[57:58], v[59:60] offset0:32 offset1:200
	ds_write_b64 v67, v[61:62] offset:8064
	s_waitcnt lgkmcnt(0)
	; wave barrier
	s_waitcnt lgkmcnt(0)
	ds_read_b64 v[3:4], v63
	s_add_u32 s6, s8, 0x24b0
	s_addc_u32 s7, s9, 0
	v_sub_u32_e32 v0, 0, v21
                                        ; implicit-def: $vgpr2
                                        ; implicit-def: $vgpr5
	s_and_saveexec_b64 s[4:5], s[2:3]
	s_xor_b64 s[4:5], exec, s[4:5]
	s_cbranch_execz .LBB0_25
; %bb.24:
	v_mov_b32_e32 v21, v1
	v_lshlrev_b64 v[1:2], 3, v[20:21]
	v_mov_b32_e32 v5, s7
	v_add_co_u32_e64 v1, s[2:3], s6, v1
	v_addc_co_u32_e64 v2, s[2:3], v5, v2, s[2:3]
	global_load_dwordx2 v[6:7], v[1:2], off
	ds_read_b64 v[1:2], v0 offset:9408
	s_waitcnt lgkmcnt(0)
	v_add_f32_e32 v8, v1, v3
	v_sub_f32_e32 v1, v3, v1
	v_add_f32_e32 v5, v2, v4
	v_sub_f32_e32 v2, v4, v2
	v_mul_f32_e32 v4, 0.5, v1
	v_mul_f32_e32 v1, 0.5, v2
	;; [unrolled: 1-line block ×3, first 2 shown]
	s_waitcnt vmcnt(0)
	v_mul_f32_e32 v2, v7, v4
	v_fma_f32 v9, 0.5, v8, v2
	v_fma_f32 v5, v3, v7, v1
	v_fma_f32 v7, v3, v7, -v1
	v_fma_f32 v1, v8, 0.5, -v2
	v_fmac_f32_e32 v9, v6, v3
	v_fma_f32 v5, -v6, v4, v5
	v_fma_f32 v1, -v6, v3, v1
	ds_write_b32 v63, v9
	v_fma_f32 v2, -v6, v4, v7
                                        ; implicit-def: $vgpr3_vgpr4
.LBB0_25:
	s_andn2_saveexec_b64 s[2:3], s[4:5]
	s_cbranch_execz .LBB0_27
; %bb.26:
	v_mov_b32_e32 v5, 0
	ds_read_b32 v2, v5 offset:4708
	s_waitcnt lgkmcnt(1)
	v_add_f32_e32 v6, v3, v4
	v_sub_f32_e32 v1, v3, v4
	ds_write_b32 v63, v6
	s_waitcnt lgkmcnt(1)
	v_xor_b32_e32 v2, 0x80000000, v2
	ds_write_b32 v5, v2 offset:4708
	v_mov_b32_e32 v2, v5
.LBB0_27:
	s_or_b64 exec, exec, s[2:3]
	v_mov_b32_e32 v25, 0
	s_waitcnt lgkmcnt(0)
	v_lshlrev_b64 v[3:4], 3, v[24:25]
	v_mov_b32_e32 v6, s7
	v_add_co_u32_e64 v3, s[2:3], s6, v3
	v_addc_co_u32_e64 v4, s[2:3], v6, v4, s[2:3]
	global_load_dwordx2 v[3:4], v[3:4], off
	v_mov_b32_e32 v37, v25
	v_lshlrev_b64 v[6:7], 3, v[36:37]
	v_mov_b32_e32 v8, s7
	v_add_co_u32_e64 v6, s[2:3], s6, v6
	v_addc_co_u32_e64 v7, s[2:3], v8, v7, s[2:3]
	global_load_dwordx2 v[6:7], v[6:7], off
	v_mov_b32_e32 v36, v25
	;; [unrolled: 6-line block ×3, first 2 shown]
	v_lshlrev_b64 v[12:13], 3, v[30:31]
	ds_write_b32 v63, v5 offset:4
	ds_write_b64 v0, v[1:2] offset:9408
	v_mov_b32_e32 v5, s7
	v_add_co_u32_e64 v12, s[2:3], s6, v12
	v_addc_co_u32_e64 v13, s[2:3], v5, v13, s[2:3]
	ds_read_b64 v[1:2], v68
	ds_read_b64 v[10:11], v0 offset:8960
	global_load_dwordx2 v[12:13], v[12:13], off
	v_mov_b32_e32 v33, v25
	v_lshlrev_b64 v[14:15], 3, v[32:33]
	v_mov_b32_e32 v18, s7
	s_waitcnt lgkmcnt(0)
	v_add_f32_e32 v5, v1, v10
	v_sub_f32_e32 v1, v1, v10
	v_add_f32_e32 v21, v2, v11
	v_sub_f32_e32 v2, v2, v11
	v_mul_f32_e32 v11, 0.5, v1
	v_mul_f32_e32 v10, 0.5, v21
	;; [unrolled: 1-line block ×3, first 2 shown]
	v_mov_b32_e32 v35, v25
	v_lshlrev_b64 v[16:17], 3, v[34:35]
	v_mov_b32_e32 v19, s7
	v_mov_b32_e32 v30, v25
	s_waitcnt vmcnt(3)
	v_mul_f32_e32 v21, v4, v11
	v_fma_f32 v2, v10, v4, v1
	v_fma_f32 v4, v10, v4, -v1
	v_fma_f32 v1, 0.5, v5, v21
	v_fma_f32 v5, v5, 0.5, -v21
	v_fma_f32 v2, -v3, v11, v2
	v_fma_f32 v4, -v3, v11, v4
	v_fmac_f32_e32 v1, v3, v10
	v_fma_f32 v3, -v3, v10, v5
	v_add_co_u32_e64 v10, s[2:3], s6, v14
	ds_write_b64 v68, v[1:2]
	ds_write_b64 v0, v[3:4] offset:8960
	v_addc_co_u32_e64 v11, s[2:3], v18, v15, s[2:3]
	ds_read_b64 v[1:2], v67
	ds_read_b64 v[3:4], v0 offset:8512
	global_load_dwordx2 v[10:11], v[10:11], off
	s_waitcnt lgkmcnt(0)
	v_add_f32_e32 v5, v1, v3
	v_sub_f32_e32 v1, v1, v3
	v_add_f32_e32 v14, v2, v4
	v_sub_f32_e32 v2, v2, v4
	v_mul_f32_e32 v4, 0.5, v1
	v_mul_f32_e32 v3, 0.5, v14
	v_mul_f32_e32 v1, 0.5, v2
	s_waitcnt vmcnt(3)
	v_mul_f32_e32 v14, v7, v4
	v_fma_f32 v2, v3, v7, v1
	v_fma_f32 v7, v3, v7, -v1
	v_fma_f32 v1, 0.5, v5, v14
	v_fma_f32 v2, -v6, v4, v2
	v_fma_f32 v5, v5, 0.5, -v14
	v_fmac_f32_e32 v1, v6, v3
	v_fma_f32 v4, -v6, v4, v7
	v_fma_f32 v3, -v6, v3, v5
	ds_write_b64 v67, v[1:2]
	ds_write_b64 v0, v[3:4] offset:8512
	ds_read_b64 v[1:2], v66
	ds_read_b64 v[3:4], v0 offset:8064
	v_add_co_u32_e64 v5, s[2:3], s6, v16
	v_addc_co_u32_e64 v6, s[2:3], v19, v17, s[2:3]
	s_waitcnt lgkmcnt(0)
	v_add_f32_e32 v7, v1, v3
	v_sub_f32_e32 v1, v1, v3
	v_add_f32_e32 v14, v2, v4
	v_sub_f32_e32 v2, v2, v4
	v_mul_f32_e32 v4, 0.5, v1
	v_mul_f32_e32 v3, 0.5, v14
	;; [unrolled: 1-line block ×3, first 2 shown]
	s_waitcnt vmcnt(2)
	v_mul_f32_e32 v14, v9, v4
	global_load_dwordx2 v[5:6], v[5:6], off
	v_fma_f32 v2, v3, v9, v1
	v_fma_f32 v9, v3, v9, -v1
	v_fma_f32 v1, 0.5, v7, v14
	v_fma_f32 v2, -v8, v4, v2
	v_fma_f32 v7, v7, 0.5, -v14
	v_fmac_f32_e32 v1, v8, v3
	v_fma_f32 v4, -v8, v4, v9
	v_fma_f32 v3, -v8, v3, v7
	ds_write_b64 v66, v[1:2]
	ds_write_b64 v0, v[3:4] offset:8064
	ds_read_b64 v[1:2], v65
	ds_read_b64 v[3:4], v0 offset:7616
	v_mov_b32_e32 v16, s7
	s_waitcnt lgkmcnt(0)
	v_add_f32_e32 v7, v1, v3
	v_sub_f32_e32 v1, v1, v3
	v_add_f32_e32 v8, v2, v4
	v_sub_f32_e32 v2, v2, v4
	v_mul_f32_e32 v9, 0.5, v1
	v_lshlrev_b64 v[3:4], 3, v[29:30]
	v_mul_f32_e32 v8, 0.5, v8
	v_mul_f32_e32 v14, 0.5, v2
	s_waitcnt vmcnt(2)
	v_mul_f32_e32 v15, v13, v9
	v_fma_f32 v1, 0.5, v7, v15
	v_fma_f32 v2, v8, v13, v14
	v_add_co_u32_e64 v3, s[2:3], s6, v3
	v_fmac_f32_e32 v1, v12, v8
	v_fma_f32 v2, -v12, v9, v2
	v_addc_co_u32_e64 v4, s[2:3], v16, v4, s[2:3]
	global_load_dwordx2 v[3:4], v[3:4], off
	ds_write_b64 v65, v[1:2]
	v_fma_f32 v1, v7, 0.5, -v15
	v_fma_f32 v2, v8, v13, -v14
	v_fma_f32 v1, -v12, v8, v1
	v_fma_f32 v2, -v12, v9, v2
	ds_write_b64 v0, v[1:2] offset:7616
	ds_read_b64 v[1:2], v73
	ds_read_b64 v[7:8], v0 offset:7168
	v_mov_b32_e32 v29, v25
	s_waitcnt lgkmcnt(0)
	v_add_f32_e32 v12, v2, v8
	v_mul_f32_e32 v14, 0.5, v12
	v_lshlrev_b64 v[12:13], 3, v[28:29]
	v_add_f32_e32 v9, v1, v7
	v_sub_f32_e32 v1, v1, v7
	v_mov_b32_e32 v7, s7
	v_add_co_u32_e64 v12, s[2:3], s6, v12
	v_addc_co_u32_e64 v13, s[2:3], v7, v13, s[2:3]
	global_load_dwordx2 v[12:13], v[12:13], off
	v_sub_f32_e32 v2, v2, v8
	v_mul_f32_e32 v7, 0.5, v1
	v_mul_f32_e32 v8, 0.5, v2
	s_waitcnt vmcnt(3)
	v_mul_f32_e32 v15, v11, v7
	v_fma_f32 v1, 0.5, v9, v15
	v_fma_f32 v2, v14, v11, v8
	v_fmac_f32_e32 v1, v10, v14
	v_fma_f32 v2, -v10, v7, v2
	ds_write_b64 v73, v[1:2]
	v_fma_f32 v1, v9, 0.5, -v15
	v_fma_f32 v2, v14, v11, -v8
	v_mov_b32_e32 v28, v25
	v_fma_f32 v1, -v10, v14, v1
	v_fma_f32 v2, -v10, v7, v2
	v_lshlrev_b64 v[9:10], 3, v[27:28]
	v_mov_b32_e32 v11, s7
	v_add_co_u32_e64 v9, s[2:3], s6, v9
	ds_write_b64 v0, v[1:2] offset:7168
	v_addc_co_u32_e64 v10, s[2:3], v11, v10, s[2:3]
	ds_read_b64 v[1:2], v72
	ds_read_b64 v[7:8], v0 offset:6720
	global_load_dwordx2 v[9:10], v[9:10], off
	s_waitcnt lgkmcnt(0)
	v_add_f32_e32 v11, v1, v7
	v_sub_f32_e32 v1, v1, v7
	v_add_f32_e32 v14, v2, v8
	v_sub_f32_e32 v2, v2, v8
	v_mul_f32_e32 v7, 0.5, v1
	v_mul_f32_e32 v14, 0.5, v14
	v_mul_f32_e32 v8, 0.5, v2
	s_waitcnt vmcnt(3)
	v_mul_f32_e32 v15, v6, v7
	v_fma_f32 v1, 0.5, v11, v15
	v_fma_f32 v2, v14, v6, v8
	v_fmac_f32_e32 v1, v5, v14
	v_fma_f32 v2, -v5, v7, v2
	ds_write_b64 v72, v[1:2]
	v_fma_f32 v1, v11, 0.5, -v15
	v_fma_f32 v2, v14, v6, -v8
	v_fma_f32 v1, -v5, v14, v1
	v_fma_f32 v2, -v5, v7, v2
	ds_write_b64 v0, v[1:2] offset:6720
	ds_read_b64 v[1:2], v71
	ds_read_b64 v[5:6], v0 offset:6272
	s_waitcnt lgkmcnt(0)
	v_add_f32_e32 v7, v1, v5
	v_sub_f32_e32 v1, v1, v5
	v_add_f32_e32 v8, v2, v6
	v_sub_f32_e32 v2, v2, v6
	v_mul_f32_e32 v5, 0.5, v1
	v_mul_f32_e32 v8, 0.5, v8
	v_mul_f32_e32 v6, 0.5, v2
	s_waitcnt vmcnt(2)
	v_mul_f32_e32 v11, v4, v5
	v_fma_f32 v1, 0.5, v7, v11
	v_fma_f32 v2, v8, v4, v6
	v_fmac_f32_e32 v1, v3, v8
	v_fma_f32 v2, -v3, v5, v2
	ds_write_b64 v71, v[1:2]
	v_fma_f32 v1, v7, 0.5, -v11
	v_fma_f32 v2, v8, v4, -v6
	v_fma_f32 v1, -v3, v8, v1
	v_fma_f32 v2, -v3, v5, v2
	ds_write_b64 v0, v[1:2] offset:6272
	ds_read_b64 v[1:2], v70
	ds_read_b64 v[3:4], v0 offset:5824
	;; [unrolled: 22-line block ×3, first 2 shown]
	s_waitcnt lgkmcnt(0)
	v_add_f32_e32 v5, v1, v3
	v_sub_f32_e32 v1, v1, v3
	v_add_f32_e32 v6, v2, v4
	v_sub_f32_e32 v2, v2, v4
	v_mul_f32_e32 v3, 0.5, v1
	v_mul_f32_e32 v6, 0.5, v6
	;; [unrolled: 1-line block ×3, first 2 shown]
	s_waitcnt vmcnt(0)
	v_mul_f32_e32 v7, v10, v3
	v_fma_f32 v1, 0.5, v5, v7
	v_fma_f32 v2, v6, v10, v4
	v_fmac_f32_e32 v1, v9, v6
	v_fma_f32 v2, -v9, v3, v2
	ds_write_b64 v69, v[1:2]
	v_fma_f32 v1, v5, 0.5, -v7
	v_fma_f32 v2, v6, v10, -v4
	v_fma_f32 v1, -v9, v6, v1
	v_fma_f32 v2, -v9, v3, v2
	ds_write_b64 v0, v[1:2] offset:5376
	s_and_saveexec_b64 s[2:3], vcc
	s_cbranch_execz .LBB0_29
; %bb.28:
	v_mov_b32_e32 v27, v25
	v_lshlrev_b64 v[1:2], 3, v[26:27]
	v_mov_b32_e32 v3, s7
	v_add_co_u32_e32 v1, vcc, s6, v1
	v_addc_co_u32_e32 v2, vcc, v3, v2, vcc
	global_load_dwordx2 v[1:2], v[1:2], off
	ds_read_b64 v[3:4], v64
	ds_read_b64 v[5:6], v0 offset:4928
	s_waitcnt lgkmcnt(0)
	v_add_f32_e32 v7, v3, v5
	v_sub_f32_e32 v3, v3, v5
	v_add_f32_e32 v8, v4, v6
	v_sub_f32_e32 v4, v4, v6
	v_mul_f32_e32 v5, 0.5, v3
	v_mul_f32_e32 v6, 0.5, v8
	;; [unrolled: 1-line block ×3, first 2 shown]
	s_waitcnt vmcnt(0)
	v_mul_f32_e32 v4, v2, v5
	v_fma_f32 v8, v6, v2, v3
	v_fma_f32 v9, v6, v2, -v3
	v_fma_f32 v2, 0.5, v7, v4
	v_fma_f32 v3, -v1, v5, v8
	v_fma_f32 v4, v7, 0.5, -v4
	v_fmac_f32_e32 v2, v1, v6
	v_fma_f32 v5, -v1, v5, v9
	v_fma_f32 v4, -v1, v6, v4
	ds_write_b64 v64, v[2:3]
	ds_write_b64 v0, v[4:5] offset:4928
.LBB0_29:
	s_or_b64 exec, exec, s[2:3]
	s_waitcnt lgkmcnt(0)
	; wave barrier
	s_waitcnt lgkmcnt(0)
	s_and_saveexec_b64 s[2:3], s[0:1]
	s_cbranch_execz .LBB0_32
; %bb.30:
	v_mov_b32_e32 v21, 0
	ds_read2_b64 v[2:5], v63 offset1:56
	v_mov_b32_e32 v0, s13
	v_add_co_u32_e32 v1, vcc, s12, v22
	v_lshlrev_b64 v[10:11], 3, v[20:21]
	v_addc_co_u32_e32 v0, vcc, v0, v23, vcc
	ds_read2_b64 v[6:9], v63 offset0:112 offset1:168
	v_add_co_u32_e32 v14, vcc, v1, v10
	v_addc_co_u32_e32 v15, vcc, v0, v11, vcc
	s_waitcnt lgkmcnt(1)
	global_store_dwordx2 v[14:15], v[2:3], off
	global_store_dwordx2 v[14:15], v[4:5], off offset:448
	s_waitcnt lgkmcnt(0)
	global_store_dwordx2 v[14:15], v[6:7], off offset:896
	v_add_u32_e32 v2, 0x400, v63
	ds_read2_b64 v[2:5], v2 offset0:96 offset1:152
	v_add_u32_e32 v6, 0x800, v63
	ds_read2_b64 v[10:13], v6 offset0:80 offset1:136
	global_store_dwordx2 v[14:15], v[8:9], off offset:1344
	ds_read2_b64 v[6:9], v6 offset0:192 offset1:248
	s_waitcnt lgkmcnt(2)
	global_store_dwordx2 v[14:15], v[2:3], off offset:1792
	global_store_dwordx2 v[14:15], v[4:5], off offset:2240
	s_waitcnt lgkmcnt(1)
	global_store_dwordx2 v[14:15], v[10:11], off offset:2688
	global_store_dwordx2 v[14:15], v[12:13], off offset:3136
	;; [unrolled: 3-line block ×3, first 2 shown]
	v_add_u32_e32 v6, 0x1000, v63
	ds_read2_b64 v[2:5], v6 offset0:48 offset1:104
	s_movk_i32 s0, 0x1000
	ds_read2_b64 v[6:9], v6 offset0:160 offset1:216
	v_add_co_u32_e32 v16, vcc, s0, v14
	v_add_u32_e32 v18, 0x1800, v63
	v_addc_co_u32_e32 v17, vcc, 0, v15, vcc
	ds_read2_b64 v[10:13], v18 offset0:16 offset1:72
	s_waitcnt lgkmcnt(2)
	global_store_dwordx2 v[16:17], v[2:3], off offset:384
	global_store_dwordx2 v[16:17], v[4:5], off offset:832
	s_waitcnt lgkmcnt(1)
	global_store_dwordx2 v[16:17], v[6:7], off offset:1280
	global_store_dwordx2 v[16:17], v[8:9], off offset:1728
	;; [unrolled: 3-line block ×3, first 2 shown]
	v_or_b32_e32 v6, 0x380, v20
	v_mov_b32_e32 v7, v21
	ds_read2_b64 v[2:5], v18 offset0:128 offset1:184
	v_lshlrev_b64 v[10:11], 3, v[6:7]
	v_add_u32_e32 v6, 0x1c00, v63
	ds_read2_b64 v[6:9], v6 offset0:112 offset1:168
	v_add_co_u32_e32 v10, vcc, v1, v10
	v_addc_co_u32_e32 v11, vcc, v0, v11, vcc
	s_waitcnt lgkmcnt(1)
	global_store_dwordx2 v[10:11], v[2:3], off
	global_store_dwordx2 v[16:17], v[4:5], off offset:3520
	s_waitcnt lgkmcnt(0)
	global_store_dwordx2 v[16:17], v[6:7], off offset:3968
	ds_read_b64 v[4:5], v63 offset:8960
	v_add_co_u32_e32 v2, vcc, 0x2000, v14
	v_addc_co_u32_e32 v3, vcc, 0, v15, vcc
	v_cmp_eq_u32_e32 vcc, 55, v20
	global_store_dwordx2 v[2:3], v[8:9], off offset:320
	s_waitcnt lgkmcnt(0)
	global_store_dwordx2 v[2:3], v[4:5], off offset:768
	s_and_b64 exec, exec, vcc
	s_cbranch_execz .LBB0_32
; %bb.31:
	ds_read_b64 v[2:3], v21 offset:9408
	v_add_co_u32_e32 v4, vcc, 0x2000, v1
	v_addc_co_u32_e32 v5, vcc, 0, v0, vcc
	s_waitcnt lgkmcnt(0)
	global_store_dwordx2 v[4:5], v[2:3], off offset:1216
.LBB0_32:
	s_endpgm
	.section	.rodata,"a",@progbits
	.p2align	6, 0x0
	.amdhsa_kernel fft_rtc_fwd_len1176_factors_2_2_2_3_7_7_wgs_56_tpt_56_halfLds_sp_ip_CI_unitstride_sbrr_R2C_dirReg
		.amdhsa_group_segment_fixed_size 0
		.amdhsa_private_segment_fixed_size 0
		.amdhsa_kernarg_size 88
		.amdhsa_user_sgpr_count 6
		.amdhsa_user_sgpr_private_segment_buffer 1
		.amdhsa_user_sgpr_dispatch_ptr 0
		.amdhsa_user_sgpr_queue_ptr 0
		.amdhsa_user_sgpr_kernarg_segment_ptr 1
		.amdhsa_user_sgpr_dispatch_id 0
		.amdhsa_user_sgpr_flat_scratch_init 0
		.amdhsa_user_sgpr_private_segment_size 0
		.amdhsa_uses_dynamic_stack 0
		.amdhsa_system_sgpr_private_segment_wavefront_offset 0
		.amdhsa_system_sgpr_workgroup_id_x 1
		.amdhsa_system_sgpr_workgroup_id_y 0
		.amdhsa_system_sgpr_workgroup_id_z 0
		.amdhsa_system_sgpr_workgroup_info 0
		.amdhsa_system_vgpr_workitem_id 0
		.amdhsa_next_free_vgpr 116
		.amdhsa_next_free_sgpr 22
		.amdhsa_reserve_vcc 1
		.amdhsa_reserve_flat_scratch 0
		.amdhsa_float_round_mode_32 0
		.amdhsa_float_round_mode_16_64 0
		.amdhsa_float_denorm_mode_32 3
		.amdhsa_float_denorm_mode_16_64 3
		.amdhsa_dx10_clamp 1
		.amdhsa_ieee_mode 1
		.amdhsa_fp16_overflow 0
		.amdhsa_exception_fp_ieee_invalid_op 0
		.amdhsa_exception_fp_denorm_src 0
		.amdhsa_exception_fp_ieee_div_zero 0
		.amdhsa_exception_fp_ieee_overflow 0
		.amdhsa_exception_fp_ieee_underflow 0
		.amdhsa_exception_fp_ieee_inexact 0
		.amdhsa_exception_int_div_zero 0
	.end_amdhsa_kernel
	.text
.Lfunc_end0:
	.size	fft_rtc_fwd_len1176_factors_2_2_2_3_7_7_wgs_56_tpt_56_halfLds_sp_ip_CI_unitstride_sbrr_R2C_dirReg, .Lfunc_end0-fft_rtc_fwd_len1176_factors_2_2_2_3_7_7_wgs_56_tpt_56_halfLds_sp_ip_CI_unitstride_sbrr_R2C_dirReg
                                        ; -- End function
	.section	.AMDGPU.csdata,"",@progbits
; Kernel info:
; codeLenInByte = 12656
; NumSgprs: 26
; NumVgprs: 116
; ScratchSize: 0
; MemoryBound: 0
; FloatMode: 240
; IeeeMode: 1
; LDSByteSize: 0 bytes/workgroup (compile time only)
; SGPRBlocks: 3
; VGPRBlocks: 28
; NumSGPRsForWavesPerEU: 26
; NumVGPRsForWavesPerEU: 116
; Occupancy: 2
; WaveLimiterHint : 1
; COMPUTE_PGM_RSRC2:SCRATCH_EN: 0
; COMPUTE_PGM_RSRC2:USER_SGPR: 6
; COMPUTE_PGM_RSRC2:TRAP_HANDLER: 0
; COMPUTE_PGM_RSRC2:TGID_X_EN: 1
; COMPUTE_PGM_RSRC2:TGID_Y_EN: 0
; COMPUTE_PGM_RSRC2:TGID_Z_EN: 0
; COMPUTE_PGM_RSRC2:TIDIG_COMP_CNT: 0
	.type	__hip_cuid_2e8b865f9eaa7de9,@object ; @__hip_cuid_2e8b865f9eaa7de9
	.section	.bss,"aw",@nobits
	.globl	__hip_cuid_2e8b865f9eaa7de9
__hip_cuid_2e8b865f9eaa7de9:
	.byte	0                               ; 0x0
	.size	__hip_cuid_2e8b865f9eaa7de9, 1

	.ident	"AMD clang version 19.0.0git (https://github.com/RadeonOpenCompute/llvm-project roc-6.4.0 25133 c7fe45cf4b819c5991fe208aaa96edf142730f1d)"
	.section	".note.GNU-stack","",@progbits
	.addrsig
	.addrsig_sym __hip_cuid_2e8b865f9eaa7de9
	.amdgpu_metadata
---
amdhsa.kernels:
  - .args:
      - .actual_access:  read_only
        .address_space:  global
        .offset:         0
        .size:           8
        .value_kind:     global_buffer
      - .offset:         8
        .size:           8
        .value_kind:     by_value
      - .actual_access:  read_only
        .address_space:  global
        .offset:         16
        .size:           8
        .value_kind:     global_buffer
      - .actual_access:  read_only
        .address_space:  global
        .offset:         24
        .size:           8
        .value_kind:     global_buffer
      - .offset:         32
        .size:           8
        .value_kind:     by_value
      - .actual_access:  read_only
        .address_space:  global
        .offset:         40
        .size:           8
        .value_kind:     global_buffer
      - .actual_access:  read_only
        .address_space:  global
        .offset:         48
        .size:           8
        .value_kind:     global_buffer
      - .offset:         56
        .size:           4
        .value_kind:     by_value
      - .actual_access:  read_only
        .address_space:  global
        .offset:         64
        .size:           8
        .value_kind:     global_buffer
      - .actual_access:  read_only
        .address_space:  global
        .offset:         72
        .size:           8
        .value_kind:     global_buffer
      - .address_space:  global
        .offset:         80
        .size:           8
        .value_kind:     global_buffer
    .group_segment_fixed_size: 0
    .kernarg_segment_align: 8
    .kernarg_segment_size: 88
    .language:       OpenCL C
    .language_version:
      - 2
      - 0
    .max_flat_workgroup_size: 56
    .name:           fft_rtc_fwd_len1176_factors_2_2_2_3_7_7_wgs_56_tpt_56_halfLds_sp_ip_CI_unitstride_sbrr_R2C_dirReg
    .private_segment_fixed_size: 0
    .sgpr_count:     26
    .sgpr_spill_count: 0
    .symbol:         fft_rtc_fwd_len1176_factors_2_2_2_3_7_7_wgs_56_tpt_56_halfLds_sp_ip_CI_unitstride_sbrr_R2C_dirReg.kd
    .uniform_work_group_size: 1
    .uses_dynamic_stack: false
    .vgpr_count:     116
    .vgpr_spill_count: 0
    .wavefront_size: 64
amdhsa.target:   amdgcn-amd-amdhsa--gfx906
amdhsa.version:
  - 1
  - 2
...

	.end_amdgpu_metadata
